;; amdgpu-corpus repo=ggml-org/llama.cpp kind=compiled arch=gfx906 opt=O3
	.amdgcn_target "amdgcn-amd-amdhsa--gfx906"
	.amdhsa_code_object_version 6
	.section	.text._ZL12ssm_conv_f32ILb1ELm128ELm3EEvPKfS1_S1_iiiiPfiiil,"axG",@progbits,_ZL12ssm_conv_f32ILb1ELm128ELm3EEvPKfS1_S1_iiiiPfiiil,comdat
	.globl	_ZL12ssm_conv_f32ILb1ELm128ELm3EEvPKfS1_S1_iiiiPfiiil ; -- Begin function _ZL12ssm_conv_f32ILb1ELm128ELm3EEvPKfS1_S1_iiiiPfiiil
	.p2align	8
	.type	_ZL12ssm_conv_f32ILb1ELm128ELm3EEvPKfS1_S1_iiiiPfiiil,@function
_ZL12ssm_conv_f32ILb1ELm128ELm3EEvPKfS1_S1_iiiiPfiiil: ; @_ZL12ssm_conv_f32ILb1ELm128ELm3EEvPKfS1_S1_iiiiPfiiil
; %bb.0:
	s_load_dwordx4 s[12:15], s[4:5], 0x1c
	s_load_dwordx4 s[0:3], s[4:5], 0x0
	s_load_dwordx2 s[8:9], s[4:5], 0x10
	s_mov_b32 s10, s7
	s_ashr_i32 s11, s7, 31
	s_lshl_b64 s[16:17], s[10:11], 7
	s_waitcnt lgkmcnt(0)
	s_ashr_i32 s7, s14, 31
	s_mul_i32 s7, s16, s7
	s_mul_hi_u32 s15, s16, s14
	s_lshr_b64 s[10:11], s[10:11], 25
	s_add_i32 s7, s15, s7
	s_mul_i32 s10, s10, s14
	s_add_i32 s7, s7, s10
	s_mul_i32 s10, s16, s14
	s_add_u32 s18, s2, s10
	s_addc_u32 s7, s3, s7
	s_cmp_eq_u64 s[8:9], 0
	v_lshlrev_b32_e32 v8, 2, v0
	s_cbranch_scc1 .LBB0_2
; %bb.1:
	s_lshl_b64 s[2:3], s[16:17], 2
	s_add_u32 s2, s8, s2
	s_addc_u32 s3, s9, s3
	global_load_dword v10, v8, s[2:3]
	s_load_dwordx2 s[2:3], s[4:5], 0x40
	s_waitcnt lgkmcnt(0)
	v_cmp_lt_i64_e64 s[8:9], s[2:3], 1
	s_and_b64 vcc, exec, s[8:9]
	s_cbranch_vccz .LBB0_3
	s_branch .LBB0_6
.LBB0_2:
	v_mov_b32_e32 v10, 0
	s_load_dwordx2 s[2:3], s[4:5], 0x40
	s_waitcnt lgkmcnt(0)
	v_cmp_lt_i64_e64 s[8:9], s[2:3], 1
	s_and_b64 vcc, exec, s[8:9]
	s_cbranch_vccnz .LBB0_6
.LBB0_3:
	s_ashr_i32 s8, s14, 2
	v_mul_lo_u32 v1, s8, v0
	s_load_dwordx2 s[14:15], s[4:5], 0x28
	s_load_dwordx4 s[8:11], s[4:5], 0x30
	s_ashr_i32 s4, s12, 31
	s_mul_hi_u32 s5, s16, s12
	s_mul_i32 s4, s16, s4
	v_mov_b32_e32 v4, s7
	s_mul_i32 s7, s13, s6
	s_add_i32 s4, s5, s4
	s_mul_i32 s5, s17, s12
	s_waitcnt lgkmcnt(0)
	s_mul_i32 s10, s10, s6
	s_ashr_i32 s13, s7, 31
	s_add_i32 s19, s4, s5
	s_ashr_i32 s11, s10, 31
	s_add_u32 s4, s14, s10
	s_addc_u32 s5, s15, s11
	s_ashr_i32 s6, s8, 31
	s_mul_hi_u32 s21, s16, s8
	s_mul_i32 s6, s16, s6
	s_add_i32 s6, s21, s6
	s_mul_i32 s17, s17, s8
	s_add_i32 s21, s6, s17
	s_mul_i32 s8, s16, s8
	s_add_u32 s4, s4, s8
	s_addc_u32 s5, s5, s21
	s_add_u32 s6, s0, s7
	s_mul_i32 s20, s16, s12
	s_addc_u32 s16, s1, s13
	s_add_u32 s6, s6, s20
	s_addc_u32 s16, s16, s19
	s_ashr_i32 s12, s12, 2
	v_ashrrev_i32_e32 v2, 31, v1
	v_mul_lo_u32 v3, s12, v0
	v_lshlrev_b64 v[1:2], 2, v[1:2]
	s_mov_b32 s17, 0x42ce8ed0
	v_add_co_u32_e32 v0, vcc, s18, v1
	v_addc_co_u32_e32 v1, vcc, v4, v2, vcc
	v_ashrrev_i32_e32 v4, 31, v3
	v_lshlrev_b64 v[6:7], 2, v[3:4]
	v_mov_b32_e32 v4, s16
	v_add_co_u32_e32 v3, vcc, s6, v6
	v_addc_co_u32_e32 v4, vcc, v4, v7, vcc
	global_load_dwordx3 v[0:2], v[0:1], off
	s_mov_b32 s16, 0xbfb8aa3b
	global_load_dwordx3 v[3:5], v[3:4], off
	s_mov_b32 s18, 0xc2b17218
	s_cmp_eq_u64 s[2:3], 1
	s_waitcnt vmcnt(0)
	v_fma_f32 v9, v0, v3, 0
	v_fmac_f32_e32 v9, v1, v4
	v_fmac_f32_e32 v9, v2, v5
	v_add_f32_e32 v9, v10, v9
	v_mul_f32_e32 v11, 0xbfb8aa3b, v9
	v_fma_f32 v12, v9, s16, -v11
	v_rndne_f32_e32 v13, v11
	v_fmac_f32_e32 v12, 0xb2a5705f, v9
	v_sub_f32_e32 v11, v11, v13
	v_add_f32_e32 v11, v11, v12
	v_cvt_i32_f32_e32 v13, v13
	v_exp_f32_e32 v12, v11
	v_cmp_nlt_f32_e32 vcc, s17, v9
	v_mov_b32_e32 v11, 0x7f800000
	v_ldexp_f32 v12, v12, v13
	v_cndmask_b32_e32 v12, 0, v12, vcc
	v_cmp_ngt_f32_e32 vcc, s18, v9
	v_cndmask_b32_e32 v12, v11, v12, vcc
	v_add_f32_e32 v12, 1.0, v12
	v_div_scale_f32 v13, s[22:23], v12, v12, v9
	v_div_scale_f32 v14, vcc, v9, v12, v9
	v_rcp_f32_e32 v15, v13
	v_fma_f32 v16, -v13, v15, 1.0
	v_fmac_f32_e32 v15, v16, v15
	v_mul_f32_e32 v16, v14, v15
	v_fma_f32 v17, -v13, v16, v14
	v_fmac_f32_e32 v16, v17, v15
	v_fma_f32 v13, -v13, v16, v14
	v_div_fmas_f32 v13, v13, v15, v16
	v_div_fixup_f32 v9, v13, v12, v9
	global_store_dword v8, v9, s[4:5]
	s_cbranch_scc1 .LBB0_6
; %bb.4:
	s_ashr_i32 s22, s9, 2
	s_ashr_i32 s23, s22, 31
	s_add_u32 s4, s2, -1
	s_addc_u32 s5, s3, -1
	s_add_u32 s0, s0, s7
	s_addc_u32 s1, s1, s13
	s_add_u32 s0, s0, s20
	s_addc_u32 s1, s1, s19
	s_lshl_b64 s[6:7], s[22:23], 2
	v_add_co_u32_e32 v6, vcc, s0, v6
	s_add_u32 s0, s8, s6
	v_mov_b32_e32 v9, s1
	s_addc_u32 s1, s21, s7
	s_add_u32 s2, s14, s10
	v_addc_co_u32_e32 v7, vcc, v9, v7, vcc
	s_addc_u32 s3, s15, s11
	v_add_co_u32_e32 v6, vcc, 12, v6
	s_add_u32 s0, s2, s0
	v_addc_co_u32_e32 v7, vcc, 0, v7, vcc
	s_addc_u32 s1, s3, s1
	v_mov_b32_e32 v9, s1
	v_add_co_u32_e32 v8, vcc, s0, v8
	v_addc_co_u32_e32 v9, vcc, 0, v9, vcc
	s_mov_b64 s[8:9], 1
	s_mov_b64 s[10:11], 3
	;; [unrolled: 1-line block ×4, first 2 shown]
.LBB0_5:                                ; =>This Inner Loop Header: Depth=1
	global_load_dword v12, v[6:7], off
	s_mul_i32 s3, s9, 0xaaaaaaab
	s_mul_hi_u32 s19, s8, 0xaaaaaaab
	s_mul_hi_u32 s2, s9, 0xaaaaaaab
	s_add_u32 s3, s3, s19
	s_mul_i32 s1, s8, 0xaaaaaaaa
	s_addc_u32 s2, s2, 0
	s_mul_hi_u32 s0, s8, 0xaaaaaaaa
	s_add_u32 s1, s1, s3
	s_addc_u32 s0, s0, 0
	s_add_u32 s0, s2, s0
	s_mul_i32 s21, s9, 0xaaaaaaaa
	s_addc_u32 s1, 0, 0
	s_mul_hi_u32 s20, s9, 0xaaaaaaaa
	s_add_u32 s0, s21, s0
	s_addc_u32 s1, s20, s1
	s_lshr_b64 s[0:1], s[0:1], 1
	s_mul_i32 s0, s0, 3
	s_mul_i32 s25, s11, 0xaaaaaaab
	s_mul_hi_u32 s26, s10, 0xaaaaaaab
	s_sub_i32 s19, s8, s0
	s_mul_hi_u32 s24, s11, 0xaaaaaaab
	s_add_u32 s0, s25, s26
	s_mul_i32 s23, s10, 0xaaaaaaaa
	s_addc_u32 s1, s24, 0
	s_mul_hi_u32 s22, s10, 0xaaaaaaaa
	s_add_u32 s0, s23, s0
	s_addc_u32 s0, s22, 0
	s_add_u32 s0, s1, s0
	s_mul_i32 s28, s11, 0xaaaaaaaa
	s_addc_u32 s1, 0, 0
	s_mul_hi_u32 s27, s11, 0xaaaaaaaa
	s_add_u32 s0, s28, s0
	s_addc_u32 s1, s27, s1
	s_lshr_b64 s[0:1], s[0:1], 1
	s_mul_i32 s0, s0, 3
	s_mul_i32 s33, s13, 0xaaaaaaab
	s_mul_hi_u32 s34, s12, 0xaaaaaaab
	s_sub_i32 s20, s10, s0
	;; [unrolled: 18-line block ×3, first 2 shown]
	s_mul_hi_u32 s39, s15, 0xaaaaaaab
	s_add_u32 s0, s40, s41
	s_mul_i32 s38, s14, 0xaaaaaaaa
	s_addc_u32 s1, s39, 0
	s_mul_hi_u32 s37, s14, 0xaaaaaaaa
	s_add_u32 s0, s38, s0
	s_addc_u32 s0, s37, 0
	s_add_u32 s0, s1, s0
	s_mul_i32 s43, s15, 0xaaaaaaaa
	s_addc_u32 s1, 0, 0
	s_mul_hi_u32 s42, s15, 0xaaaaaaaa
	s_add_u32 s0, s43, s0
	s_addc_u32 s1, s42, s1
	s_lshr_b64 s[0:1], s[0:1], 1
	s_mul_i32 s0, s0, 3
	s_sub_i32 s2, s14, s0
	s_cmp_eq_u32 s2, 2
	s_cselect_b64 vcc, -1, 0
	s_cmp_eq_u32 s2, 1
	s_cselect_b64 s[0:1], -1, 0
	s_cmp_eq_u32 s2, 0
	s_cselect_b64 s[2:3], -1, 0
	s_cmp_eq_u32 s19, 1
	s_waitcnt vmcnt(0)
	v_cndmask_b32_e32 v5, v5, v12, vcc
	v_cndmask_b32_e64 v4, v4, v12, s[0:1]
	v_cndmask_b32_e64 v3, v3, v12, s[2:3]
	s_cselect_b64 vcc, -1, 0
	s_cmp_eq_u32 s19, 2
	v_cndmask_b32_e32 v12, v3, v4, vcc
	s_cselect_b64 vcc, -1, 0
	s_add_u32 s8, s8, 1
	s_addc_u32 s9, s9, 0
	s_cmp_eq_u32 s21, 1
	v_cndmask_b32_e32 v12, v12, v5, vcc
	s_cselect_b64 vcc, -1, 0
	s_cmp_eq_u32 s21, 2
	v_cndmask_b32_e32 v13, v3, v4, vcc
	s_cselect_b64 vcc, -1, 0
	s_cmp_eq_u32 s20, 1
	v_fma_f32 v12, v0, v12, 0
	v_cndmask_b32_e32 v13, v13, v5, vcc
	s_cselect_b64 vcc, -1, 0
	s_cmp_eq_u32 s20, 2
	v_fmac_f32_e32 v12, v1, v13
	v_cndmask_b32_e32 v13, v3, v4, vcc
	s_cselect_b64 vcc, -1, 0
	v_cndmask_b32_e32 v13, v13, v5, vcc
	v_fmac_f32_e32 v12, v2, v13
	v_add_f32_e32 v12, v10, v12
	v_mul_f32_e32 v13, 0xbfb8aa3b, v12
	v_fma_f32 v14, v12, s16, -v13
	v_rndne_f32_e32 v15, v13
	v_fmac_f32_e32 v14, 0xb2a5705f, v12
	v_sub_f32_e32 v13, v13, v15
	v_add_f32_e32 v13, v13, v14
	v_cvt_i32_f32_e32 v15, v15
	v_exp_f32_e32 v13, v13
	v_cmp_nlt_f32_e32 vcc, s17, v12
	s_add_u32 s10, s10, 1
	s_addc_u32 s11, s11, 0
	v_ldexp_f32 v13, v13, v15
	v_cndmask_b32_e32 v13, 0, v13, vcc
	v_cmp_ngt_f32_e32 vcc, s18, v12
	v_cndmask_b32_e32 v13, v11, v13, vcc
	v_add_f32_e32 v13, 1.0, v13
	v_div_scale_f32 v14, s[0:1], v13, v13, v12
	v_div_scale_f32 v15, vcc, v12, v13, v12
	s_add_u32 s4, s4, -1
	s_addc_u32 s5, s5, -1
	s_add_u32 s12, s12, 1
	v_add_co_u32_e64 v6, s[0:1], 4, v6
	s_addc_u32 s13, s13, 0
	s_add_u32 s14, s14, 1
	s_addc_u32 s15, s15, 0
	s_cmp_eq_u64 s[4:5], 0
	v_rcp_f32_e32 v16, v14
	v_fma_f32 v17, -v14, v16, 1.0
	v_fmac_f32_e32 v16, v17, v16
	v_mul_f32_e32 v17, v15, v16
	v_fma_f32 v18, -v14, v17, v15
	v_fmac_f32_e32 v17, v18, v16
	v_fma_f32 v14, -v14, v17, v15
	v_div_fmas_f32 v14, v14, v16, v17
	v_addc_co_u32_e64 v7, vcc, 0, v7, s[0:1]
	v_mov_b32_e32 v15, s7
	v_div_fixup_f32 v12, v14, v13, v12
	global_store_dword v[8:9], v12, off
	v_add_co_u32_e32 v8, vcc, s6, v8
	v_addc_co_u32_e32 v9, vcc, v9, v15, vcc
	s_cbranch_scc0 .LBB0_5
.LBB0_6:
	s_endpgm
	.section	.rodata,"a",@progbits
	.p2align	6, 0x0
	.amdhsa_kernel _ZL12ssm_conv_f32ILb1ELm128ELm3EEvPKfS1_S1_iiiiPfiiil
		.amdhsa_group_segment_fixed_size 0
		.amdhsa_private_segment_fixed_size 0
		.amdhsa_kernarg_size 72
		.amdhsa_user_sgpr_count 6
		.amdhsa_user_sgpr_private_segment_buffer 1
		.amdhsa_user_sgpr_dispatch_ptr 0
		.amdhsa_user_sgpr_queue_ptr 0
		.amdhsa_user_sgpr_kernarg_segment_ptr 1
		.amdhsa_user_sgpr_dispatch_id 0
		.amdhsa_user_sgpr_flat_scratch_init 0
		.amdhsa_user_sgpr_private_segment_size 0
		.amdhsa_uses_dynamic_stack 0
		.amdhsa_system_sgpr_private_segment_wavefront_offset 0
		.amdhsa_system_sgpr_workgroup_id_x 1
		.amdhsa_system_sgpr_workgroup_id_y 1
		.amdhsa_system_sgpr_workgroup_id_z 0
		.amdhsa_system_sgpr_workgroup_info 0
		.amdhsa_system_vgpr_workitem_id 0
		.amdhsa_next_free_vgpr 19
		.amdhsa_next_free_sgpr 44
		.amdhsa_reserve_vcc 1
		.amdhsa_reserve_flat_scratch 0
		.amdhsa_float_round_mode_32 0
		.amdhsa_float_round_mode_16_64 0
		.amdhsa_float_denorm_mode_32 3
		.amdhsa_float_denorm_mode_16_64 3
		.amdhsa_dx10_clamp 1
		.amdhsa_ieee_mode 1
		.amdhsa_fp16_overflow 0
		.amdhsa_exception_fp_ieee_invalid_op 0
		.amdhsa_exception_fp_denorm_src 0
		.amdhsa_exception_fp_ieee_div_zero 0
		.amdhsa_exception_fp_ieee_overflow 0
		.amdhsa_exception_fp_ieee_underflow 0
		.amdhsa_exception_fp_ieee_inexact 0
		.amdhsa_exception_int_div_zero 0
	.end_amdhsa_kernel
	.section	.text._ZL12ssm_conv_f32ILb1ELm128ELm3EEvPKfS1_S1_iiiiPfiiil,"axG",@progbits,_ZL12ssm_conv_f32ILb1ELm128ELm3EEvPKfS1_S1_iiiiPfiiil,comdat
.Lfunc_end0:
	.size	_ZL12ssm_conv_f32ILb1ELm128ELm3EEvPKfS1_S1_iiiiPfiiil, .Lfunc_end0-_ZL12ssm_conv_f32ILb1ELm128ELm3EEvPKfS1_S1_iiiiPfiiil
                                        ; -- End function
	.set _ZL12ssm_conv_f32ILb1ELm128ELm3EEvPKfS1_S1_iiiiPfiiil.num_vgpr, 19
	.set _ZL12ssm_conv_f32ILb1ELm128ELm3EEvPKfS1_S1_iiiiPfiiil.num_agpr, 0
	.set _ZL12ssm_conv_f32ILb1ELm128ELm3EEvPKfS1_S1_iiiiPfiiil.numbered_sgpr, 44
	.set _ZL12ssm_conv_f32ILb1ELm128ELm3EEvPKfS1_S1_iiiiPfiiil.num_named_barrier, 0
	.set _ZL12ssm_conv_f32ILb1ELm128ELm3EEvPKfS1_S1_iiiiPfiiil.private_seg_size, 0
	.set _ZL12ssm_conv_f32ILb1ELm128ELm3EEvPKfS1_S1_iiiiPfiiil.uses_vcc, 1
	.set _ZL12ssm_conv_f32ILb1ELm128ELm3EEvPKfS1_S1_iiiiPfiiil.uses_flat_scratch, 0
	.set _ZL12ssm_conv_f32ILb1ELm128ELm3EEvPKfS1_S1_iiiiPfiiil.has_dyn_sized_stack, 0
	.set _ZL12ssm_conv_f32ILb1ELm128ELm3EEvPKfS1_S1_iiiiPfiiil.has_recursion, 0
	.set _ZL12ssm_conv_f32ILb1ELm128ELm3EEvPKfS1_S1_iiiiPfiiil.has_indirect_call, 0
	.section	.AMDGPU.csdata,"",@progbits
; Kernel info:
; codeLenInByte = 1492
; TotalNumSgprs: 48
; NumVgprs: 19
; ScratchSize: 0
; MemoryBound: 0
; FloatMode: 240
; IeeeMode: 1
; LDSByteSize: 0 bytes/workgroup (compile time only)
; SGPRBlocks: 5
; VGPRBlocks: 4
; NumSGPRsForWavesPerEU: 48
; NumVGPRsForWavesPerEU: 19
; Occupancy: 10
; WaveLimiterHint : 0
; COMPUTE_PGM_RSRC2:SCRATCH_EN: 0
; COMPUTE_PGM_RSRC2:USER_SGPR: 6
; COMPUTE_PGM_RSRC2:TRAP_HANDLER: 0
; COMPUTE_PGM_RSRC2:TGID_X_EN: 1
; COMPUTE_PGM_RSRC2:TGID_Y_EN: 1
; COMPUTE_PGM_RSRC2:TGID_Z_EN: 0
; COMPUTE_PGM_RSRC2:TIDIG_COMP_CNT: 0
	.section	.text._ZL23ssm_conv_long_token_f32ILb1ELm128ELm3ELl32EEvPKfS1_S1_iiiiPfiiil,"axG",@progbits,_ZL23ssm_conv_long_token_f32ILb1ELm128ELm3ELl32EEvPKfS1_S1_iiiiPfiiil,comdat
	.globl	_ZL23ssm_conv_long_token_f32ILb1ELm128ELm3ELl32EEvPKfS1_S1_iiiiPfiiil ; -- Begin function _ZL23ssm_conv_long_token_f32ILb1ELm128ELm3ELl32EEvPKfS1_S1_iiiiPfiiil
	.p2align	8
	.type	_ZL23ssm_conv_long_token_f32ILb1ELm128ELm3ELl32EEvPKfS1_S1_iiiiPfiiil,@function
_ZL23ssm_conv_long_token_f32ILb1ELm128ELm3ELl32EEvPKfS1_S1_iiiiPfiiil: ; @_ZL23ssm_conv_long_token_f32ILb1ELm128ELm3ELl32EEvPKfS1_S1_iiiiPfiiil
; %bb.0:
	s_load_dwordx2 s[12:13], s[4:5], 0x0
	s_load_dwordx4 s[0:3], s[4:5], 0x18
	s_mov_b32 s10, s7
	v_mul_u32_u24_e32 v1, 0x788, v0
	v_lshrrev_b32_e32 v4, 16, v1
	v_mul_lo_u16_e32 v1, 34, v4
	s_waitcnt lgkmcnt(0)
	s_mul_i32 s2, s2, s6
	s_ashr_i32 s7, s2, 31
	s_add_u32 s2, s12, s2
	s_addc_u32 s7, s13, s7
	s_ashr_i32 s11, s10, 31
	s_lshl_b64 s[12:13], s[10:11], 7
	s_ashr_i32 s9, s1, 31
	s_mul_i32 s9, s12, s9
	s_mul_hi_u32 s14, s12, s1
	s_lshr_b64 s[10:11], s[10:11], 25
	s_add_i32 s9, s14, s9
	s_mul_i32 s10, s10, s1
	s_add_i32 s9, s9, s10
	s_mul_i32 s10, s12, s1
	s_add_u32 s2, s2, s10
	s_addc_u32 s7, s7, s9
	s_ashr_i32 s9, s8, 31
	s_lshl_b64 s[14:15], s[8:9], 5
	s_ashr_i32 s10, s0, 31
	s_mul_i32 s10, s14, s10
	s_mul_hi_u32 s11, s14, s0
	s_lshr_b64 s[8:9], s[8:9], 27
	s_add_i32 s10, s11, s10
	s_mul_i32 s8, s8, s0
	s_add_i32 s10, s10, s8
	s_mul_i32 s0, s14, s0
	s_add_u32 s2, s2, s0
	s_addc_u32 s7, s7, s10
	s_ashr_i32 s20, s1, 2
	v_sub_u16_e32 v1, v0, v1
	v_mad_u64_u32 v[2:3], s[0:1], s20, v4, v[1:2]
	v_mov_b32_e32 v5, s7
	s_movk_i32 s9, 0x88
	v_ashrrev_i32_e32 v3, 31, v2
	v_lshlrev_b64 v[2:3], 2, v[2:3]
	s_movk_i32 s8, 0x80
	v_add_co_u32_e32 v2, vcc, s2, v2
	v_addc_co_u32_e32 v3, vcc, v5, v3, vcc
	global_load_dword v2, v[2:3], off
	v_mul_u32_u24_e32 v3, 0x88, v4
	v_lshlrev_b32_e32 v5, 2, v1
	v_add3_u32 v3, 0, v3, v5
	v_or_b32_e32 v1, 0x80, v1
	v_mov_b32_e32 v5, s7
	s_waitcnt vmcnt(0)
	ds_write_b32 v3, v2
	v_mul_lo_u16_e32 v2, 0xf1, v1
	v_lshrrev_b16_e32 v2, 13, v2
	v_add_u32_e32 v4, v4, v2
	v_mul_lo_u16_e32 v2, 34, v2
	v_sub_u16_e32 v1, v1, v2
	v_and_b32_e32 v1, 0xff, v1
	v_mad_u64_u32 v[2:3], s[0:1], v4, s20, v[1:2]
	v_ashrrev_i32_e32 v3, 31, v2
	v_lshlrev_b64 v[2:3], 2, v[2:3]
	v_add_co_u32_e32 v2, vcc, s2, v2
	v_addc_co_u32_e32 v3, vcc, v5, v3, vcc
	global_load_dword v2, v[2:3], off
	v_mul_u32_u24_e32 v3, 0x88, v4
	v_lshlrev_b32_e32 v5, 2, v1
	v_add3_u32 v3, 0, v3, v5
	v_or_b32_e32 v1, 0x80, v1
	v_mov_b32_e32 v5, s7
	s_waitcnt vmcnt(0)
	ds_write_b32 v3, v2
	v_mul_lo_u16_e32 v2, 0xf1, v1
	v_lshrrev_b16_e32 v2, 13, v2
	v_add_u32_e32 v4, v4, v2
	v_mul_lo_u16_e32 v2, 34, v2
	v_sub_u16_e32 v1, v1, v2
	v_and_b32_e32 v1, 0xff, v1
	v_mad_u64_u32 v[2:3], s[0:1], v4, s20, v[1:2]
	v_ashrrev_i32_e32 v3, 31, v2
	v_lshlrev_b64 v[2:3], 2, v[2:3]
	v_add_co_u32_e32 v2, vcc, s2, v2
	v_addc_co_u32_e32 v3, vcc, v5, v3, vcc
	global_load_dword v2, v[2:3], off
	v_mul_u32_u24_e32 v3, 0x88, v4
	v_lshlrev_b32_e32 v5, 2, v1
	v_add3_u32 v3, 0, v3, v5
	v_or_b32_e32 v1, 0x80, v1
	v_mov_b32_e32 v5, s7
	s_waitcnt vmcnt(0)
	ds_write_b32 v3, v2
	v_mul_lo_u16_e32 v2, 0xf1, v1
	v_lshrrev_b16_e32 v2, 13, v2
	v_add_u32_e32 v4, v4, v2
	v_mul_lo_u16_e32 v2, 34, v2
	v_sub_u16_e32 v1, v1, v2
	v_and_b32_e32 v1, 0xff, v1
	v_mad_u64_u32 v[2:3], s[0:1], v4, s20, v[1:2]
	v_ashrrev_i32_e32 v3, 31, v2
	v_lshlrev_b64 v[2:3], 2, v[2:3]
	v_add_co_u32_e32 v2, vcc, s2, v2
	v_addc_co_u32_e32 v3, vcc, v5, v3, vcc
	global_load_dword v2, v[2:3], off
	v_mul_u32_u24_e32 v3, 0x88, v4
	v_lshlrev_b32_e32 v5, 2, v1
	v_add3_u32 v3, 0, v3, v5
	v_or_b32_e32 v1, 0x80, v1
	v_mov_b32_e32 v5, s7
	s_waitcnt vmcnt(0)
	ds_write_b32 v3, v2
	v_mul_lo_u16_e32 v2, 0xf1, v1
	v_lshrrev_b16_e32 v2, 13, v2
	v_add_u32_e32 v4, v4, v2
	v_mul_lo_u16_e32 v2, 34, v2
	v_sub_u16_e32 v1, v1, v2
	v_and_b32_e32 v1, 0xff, v1
	v_mad_u64_u32 v[2:3], s[0:1], v4, s20, v[1:2]
	v_ashrrev_i32_e32 v3, 31, v2
	v_lshlrev_b64 v[2:3], 2, v[2:3]
	v_add_co_u32_e32 v2, vcc, s2, v2
	v_addc_co_u32_e32 v3, vcc, v5, v3, vcc
	global_load_dword v2, v[2:3], off
	v_mul_u32_u24_e32 v3, 0x88, v4
	v_lshlrev_b32_e32 v5, 2, v1
	v_add3_u32 v3, 0, v3, v5
	v_or_b32_e32 v1, 0x80, v1
	v_mov_b32_e32 v5, s7
	s_waitcnt vmcnt(0)
	ds_write_b32 v3, v2
	v_mul_lo_u16_e32 v2, 0xf1, v1
	v_lshrrev_b16_e32 v2, 13, v2
	v_add_u32_e32 v4, v4, v2
	v_mul_lo_u16_e32 v2, 34, v2
	v_sub_u16_e32 v1, v1, v2
	v_and_b32_e32 v1, 0xff, v1
	v_mad_u64_u32 v[2:3], s[0:1], v4, s20, v[1:2]
	v_ashrrev_i32_e32 v3, 31, v2
	v_lshlrev_b64 v[2:3], 2, v[2:3]
	v_add_co_u32_e32 v2, vcc, s2, v2
	v_addc_co_u32_e32 v3, vcc, v5, v3, vcc
	global_load_dword v2, v[2:3], off
	v_mul_u32_u24_e32 v3, 0x88, v4
	v_lshlrev_b32_e32 v5, 2, v1
	v_add3_u32 v3, 0, v3, v5
	v_or_b32_e32 v1, 0x80, v1
	v_mov_b32_e32 v5, s7
	s_waitcnt vmcnt(0)
	ds_write_b32 v3, v2
	v_mul_lo_u16_e32 v2, 0xf1, v1
	v_lshrrev_b16_e32 v2, 13, v2
	v_add_u32_e32 v4, v4, v2
	v_mul_lo_u16_e32 v2, 34, v2
	v_sub_u16_e32 v1, v1, v2
	v_and_b32_e32 v1, 0xff, v1
	v_mad_u64_u32 v[2:3], s[0:1], v4, s20, v[1:2]
	v_ashrrev_i32_e32 v3, 31, v2
	v_lshlrev_b64 v[2:3], 2, v[2:3]
	v_add_co_u32_e32 v2, vcc, s2, v2
	v_addc_co_u32_e32 v3, vcc, v5, v3, vcc
	global_load_dword v2, v[2:3], off
	v_mul_lo_u32 v3, v4, s9
	v_lshlrev_b32_e32 v5, 2, v1
	v_or_b32_e32 v1, 0x80, v1
	v_add3_u32 v3, 0, v3, v5
	v_mov_b32_e32 v5, s7
	s_waitcnt vmcnt(0)
	ds_write_b32 v3, v2
	v_mul_lo_u16_e32 v2, 0xf1, v1
	v_lshrrev_b16_e32 v2, 13, v2
	v_add_u32_e32 v4, v4, v2
	v_mul_lo_u16_e32 v2, 34, v2
	v_sub_u16_e32 v1, v1, v2
	v_and_b32_e32 v1, 0xff, v1
	v_mad_u64_u32 v[2:3], s[0:1], v4, s20, v[1:2]
	v_ashrrev_i32_e32 v3, 31, v2
	v_lshlrev_b64 v[2:3], 2, v[2:3]
	v_add_co_u32_e32 v2, vcc, s2, v2
	v_addc_co_u32_e32 v3, vcc, v5, v3, vcc
	global_load_dword v2, v[2:3], off
	v_mul_lo_u32 v3, v4, s9
	v_lshlrev_b32_e32 v5, 2, v1
	v_or_b32_e32 v1, 0x80, v1
	v_add3_u32 v3, 0, v3, v5
	v_mov_b32_e32 v5, s7
	s_waitcnt vmcnt(0)
	ds_write_b32 v3, v2
	v_mul_lo_u16_e32 v2, 0xf1, v1
	v_lshrrev_b16_e32 v2, 13, v2
	v_add_u32_e32 v4, v4, v2
	v_mul_lo_u16_e32 v2, 34, v2
	v_sub_u16_e32 v1, v1, v2
	v_and_b32_e32 v1, 0xff, v1
	v_mad_u64_u32 v[2:3], s[0:1], v4, s20, v[1:2]
	v_ashrrev_i32_e32 v3, 31, v2
	v_lshlrev_b64 v[2:3], 2, v[2:3]
	;; [unrolled: 19-line block ×13, first 2 shown]
	v_add_co_u32_e32 v2, vcc, s2, v2
	v_addc_co_u32_e32 v3, vcc, v5, v3, vcc
	global_load_dword v2, v[2:3], off
	v_mul_lo_u32 v3, v4, s9
	v_lshlrev_b32_e32 v5, 2, v1
	v_or_b32_e32 v1, 0x80, v1
	v_add3_u32 v3, 0, v3, v5
	s_waitcnt vmcnt(0)
	ds_write_b32 v3, v2
	v_mul_lo_u16_e32 v2, 0xf1, v1
	v_lshrrev_b16_e32 v3, 13, v2
	v_add_u32_e32 v2, v4, v3
	v_mul_lo_u16_e32 v3, 34, v3
	v_sub_u16_e32 v1, v1, v3
	v_and_b32_e32 v1, 0xff, v1
	v_cmp_gt_u32_e32 vcc, s8, v2
	s_and_saveexec_b64 s[0:1], vcc
	s_cbranch_execz .LBB1_2
; %bb.1:
	v_mad_u64_u32 v[3:4], s[10:11], v2, s20, v[1:2]
	v_mov_b32_e32 v5, s7
	v_ashrrev_i32_e32 v4, 31, v3
	v_lshlrev_b64 v[3:4], 2, v[3:4]
	v_add_co_u32_e32 v3, vcc, s2, v3
	v_addc_co_u32_e32 v4, vcc, v5, v4, vcc
	global_load_dword v3, v[3:4], off
	v_mul_lo_u32 v4, v2, s9
	v_lshlrev_b32_e32 v5, 2, v1
	v_add3_u32 v4, 0, v4, v5
	s_waitcnt vmcnt(0)
	ds_write_b32 v4, v3
.LBB1_2:
	s_or_b64 exec, exec, s[0:1]
	v_or_b32_e32 v1, 0x80, v1
	v_mul_lo_u16_e32 v3, 0xf1, v1
	v_lshrrev_b16_e32 v3, 13, v3
	v_add_u32_e32 v2, v2, v3
	v_mul_lo_u16_e32 v3, 34, v3
	v_sub_u16_e32 v1, v1, v3
	v_and_b32_e32 v1, 0xff, v1
	v_cmp_gt_u32_e32 vcc, s8, v2
	s_and_saveexec_b64 s[0:1], vcc
	s_cbranch_execz .LBB1_4
; %bb.3:
	v_mad_u64_u32 v[3:4], s[8:9], v2, s20, v[1:2]
	v_mov_b32_e32 v5, s7
	s_movk_i32 s8, 0x88
	v_ashrrev_i32_e32 v4, 31, v3
	v_lshlrev_b64 v[3:4], 2, v[3:4]
	v_add_co_u32_e32 v3, vcc, s2, v3
	v_addc_co_u32_e32 v4, vcc, v5, v4, vcc
	global_load_dword v3, v[3:4], off
	v_mul_lo_u32 v4, v2, s8
	v_lshlrev_b32_e32 v5, 2, v1
	v_add3_u32 v4, 0, v4, v5
	s_waitcnt vmcnt(0)
	ds_write_b32 v4, v3
.LBB1_4:
	s_or_b64 exec, exec, s[0:1]
	v_or_b32_e32 v1, 0x80, v1
	v_mul_lo_u16_e32 v3, 0xf1, v1
	v_lshrrev_b16_e32 v3, 13, v3
	v_add_u32_e32 v2, v2, v3
	v_mul_lo_u16_e32 v3, 34, v3
	s_movk_i32 s8, 0x80
	v_sub_u16_e32 v1, v1, v3
	v_and_b32_e32 v1, 0xff, v1
	v_cmp_gt_u32_e32 vcc, s8, v2
	s_and_saveexec_b64 s[0:1], vcc
	s_cbranch_execz .LBB1_6
; %bb.5:
	v_mad_u64_u32 v[3:4], s[10:11], v2, s20, v[1:2]
	v_mov_b32_e32 v5, s7
	s_movk_i32 s9, 0x88
	v_ashrrev_i32_e32 v4, 31, v3
	v_lshlrev_b64 v[3:4], 2, v[3:4]
	v_add_co_u32_e32 v3, vcc, s2, v3
	v_addc_co_u32_e32 v4, vcc, v5, v4, vcc
	global_load_dword v3, v[3:4], off
	v_mul_lo_u32 v4, v2, s9
	v_lshlrev_b32_e32 v5, 2, v1
	v_add3_u32 v4, 0, v4, v5
	s_waitcnt vmcnt(0)
	ds_write_b32 v4, v3
.LBB1_6:
	s_or_b64 exec, exec, s[0:1]
	v_or_b32_e32 v1, 0x80, v1
	v_mul_lo_u16_e32 v3, 0xf1, v1
	v_lshrrev_b16_e32 v3, 13, v3
	v_add_u32_e32 v2, v2, v3
	v_mul_lo_u16_e32 v3, 34, v3
	v_sub_u16_e32 v1, v1, v3
	v_and_b32_e32 v1, 0xff, v1
	v_cmp_gt_u32_e32 vcc, s8, v2
	s_and_saveexec_b64 s[0:1], vcc
	s_cbranch_execz .LBB1_8
; %bb.7:
	v_mad_u64_u32 v[3:4], s[8:9], v2, s20, v[1:2]
	v_mov_b32_e32 v5, s7
	s_movk_i32 s8, 0x88
	v_ashrrev_i32_e32 v4, 31, v3
	v_lshlrev_b64 v[3:4], 2, v[3:4]
	v_add_co_u32_e32 v3, vcc, s2, v3
	v_addc_co_u32_e32 v4, vcc, v5, v4, vcc
	global_load_dword v3, v[3:4], off
	v_mul_lo_u32 v4, v2, s8
	v_lshlrev_b32_e32 v5, 2, v1
	v_add3_u32 v4, 0, v4, v5
	s_waitcnt vmcnt(0)
	ds_write_b32 v4, v3
.LBB1_8:
	s_or_b64 exec, exec, s[0:1]
	v_or_b32_e32 v1, 0x80, v1
	v_mul_lo_u16_e32 v3, 0xf1, v1
	v_lshrrev_b16_e32 v3, 13, v3
	v_add_u32_e32 v2, v2, v3
	v_mul_lo_u16_e32 v3, 34, v3
	s_movk_i32 s8, 0x80
	v_sub_u16_e32 v1, v1, v3
	v_and_b32_e32 v1, 0xff, v1
	v_cmp_gt_u32_e32 vcc, s8, v2
	s_and_saveexec_b64 s[0:1], vcc
	s_cbranch_execz .LBB1_10
; %bb.9:
	v_mad_u64_u32 v[3:4], s[10:11], v2, s20, v[1:2]
	v_mov_b32_e32 v5, s7
	s_movk_i32 s9, 0x88
	v_ashrrev_i32_e32 v4, 31, v3
	v_lshlrev_b64 v[3:4], 2, v[3:4]
	v_add_co_u32_e32 v3, vcc, s2, v3
	v_addc_co_u32_e32 v4, vcc, v5, v4, vcc
	global_load_dword v3, v[3:4], off
	v_mul_lo_u32 v4, v2, s9
	v_lshlrev_b32_e32 v5, 2, v1
	v_add3_u32 v4, 0, v4, v5
	s_waitcnt vmcnt(0)
	ds_write_b32 v4, v3
.LBB1_10:
	;; [unrolled: 53-line block ×3, first 2 shown]
	s_or_b64 exec, exec, s[0:1]
	s_load_dwordx4 s[8:11], s[4:5], 0x8
	s_load_dwordx2 s[0:1], s[4:5], 0x28
	s_movk_i32 s16, 0x380
	v_cmp_gt_u32_e32 vcc, s16, v0
	s_and_saveexec_b64 s[16:17], vcc
	s_cbranch_execz .LBB1_35
; %bb.15:
	v_or_b32_e32 v1, 0x80, v1
	v_mul_lo_u16_e32 v3, 0xf1, v1
	v_lshrrev_b16_e32 v3, 13, v3
	v_add_u32_e32 v2, v2, v3
	v_mul_lo_u16_e32 v3, 34, v3
	s_movk_i32 s18, 0x80
	v_sub_u16_e32 v1, v1, v3
	v_and_b32_e32 v1, 0xff, v1
	v_cmp_gt_u32_e32 vcc, s18, v2
	s_and_saveexec_b64 s[18:19], vcc
	s_cbranch_execz .LBB1_17
; %bb.16:
	v_mad_u64_u32 v[3:4], s[22:23], v2, s20, v[1:2]
	v_mov_b32_e32 v5, s7
	s_movk_i32 s21, 0x88
	v_ashrrev_i32_e32 v4, 31, v3
	v_lshlrev_b64 v[3:4], 2, v[3:4]
	v_add_co_u32_e32 v3, vcc, s2, v3
	v_addc_co_u32_e32 v4, vcc, v5, v4, vcc
	global_load_dword v3, v[3:4], off
	v_mul_lo_u32 v4, v2, s21
	v_lshlrev_b32_e32 v5, 2, v1
	v_add3_u32 v4, 0, v4, v5
	s_waitcnt vmcnt(0)
	ds_write_b32 v4, v3
.LBB1_17:
	s_or_b64 exec, exec, s[18:19]
	s_movk_i32 s18, 0x300
	v_cmp_gt_u32_e32 vcc, s18, v0
	s_and_b64 exec, exec, vcc
	s_cbranch_execz .LBB1_35
; %bb.18:
	v_or_b32_e32 v1, 0x80, v1
	v_mul_lo_u16_e32 v3, 0xf1, v1
	v_lshrrev_b16_e32 v3, 13, v3
	v_add_u32_e32 v2, v2, v3
	v_mul_lo_u16_e32 v3, 34, v3
	s_movk_i32 s18, 0x80
	v_sub_u16_e32 v1, v1, v3
	v_and_b32_e32 v1, 0xff, v1
	v_cmp_gt_u32_e32 vcc, s18, v2
	s_and_saveexec_b64 s[18:19], vcc
	s_cbranch_execz .LBB1_20
; %bb.19:
	v_mad_u64_u32 v[3:4], s[22:23], v2, s20, v[1:2]
	v_mov_b32_e32 v5, s7
	s_movk_i32 s21, 0x88
	v_ashrrev_i32_e32 v4, 31, v3
	v_lshlrev_b64 v[3:4], 2, v[3:4]
	v_add_co_u32_e32 v3, vcc, s2, v3
	v_addc_co_u32_e32 v4, vcc, v5, v4, vcc
	global_load_dword v3, v[3:4], off
	v_mul_lo_u32 v4, v2, s21
	v_lshlrev_b32_e32 v5, 2, v1
	v_add3_u32 v4, 0, v4, v5
	s_waitcnt vmcnt(0)
	ds_write_b32 v4, v3
.LBB1_20:
	s_or_b64 exec, exec, s[18:19]
	s_movk_i32 s18, 0x280
	v_cmp_gt_u32_e32 vcc, s18, v0
	s_and_b64 exec, exec, vcc
	;; [unrolled: 32-line block ×5, first 2 shown]
	s_cbranch_execz .LBB1_35
; %bb.30:
	v_or_b32_e32 v1, 0x80, v1
	v_mul_lo_u16_e32 v3, 0xf1, v1
	v_lshrrev_b16_e32 v3, 13, v3
	v_add_u32_e32 v2, v2, v3
	v_mul_lo_u16_e32 v3, 34, v3
	s_movk_i32 s21, 0x80
	v_sub_u16_e32 v1, v1, v3
	v_and_b32_e32 v1, 0xff, v1
	v_cmp_gt_u32_e32 vcc, s21, v2
	s_and_saveexec_b64 s[18:19], vcc
	s_cbranch_execz .LBB1_32
; %bb.31:
	v_mad_u64_u32 v[3:4], s[22:23], v2, s20, v[1:2]
	v_mov_b32_e32 v5, s7
	s_movk_i32 s22, 0x88
	v_ashrrev_i32_e32 v4, 31, v3
	v_lshlrev_b64 v[3:4], 2, v[3:4]
	v_add_co_u32_e32 v3, vcc, s2, v3
	v_addc_co_u32_e32 v4, vcc, v5, v4, vcc
	global_load_dword v3, v[3:4], off
	v_mul_lo_u32 v4, v2, s22
	v_lshlrev_b32_e32 v5, 2, v1
	v_add3_u32 v4, 0, v4, v5
	s_waitcnt vmcnt(0)
	ds_write_b32 v4, v3
.LBB1_32:
	s_or_b64 exec, exec, s[18:19]
	v_cmp_gt_u32_e32 vcc, s21, v0
	s_and_b64 exec, exec, vcc
	s_cbranch_execz .LBB1_35
; %bb.33:
	v_or_b32_e32 v3, 0x80, v1
	v_mul_lo_u16_e32 v1, 0xf1, v3
	v_lshrrev_b16_e32 v4, 13, v1
	s_movk_i32 s18, 0x80
	v_add_u32_e32 v1, v2, v4
	v_cmp_gt_u32_e32 vcc, s18, v1
	s_and_b64 exec, exec, vcc
	s_cbranch_execz .LBB1_35
; %bb.34:
	v_mul_lo_u16_e32 v2, 34, v4
	v_sub_u16_e32 v2, v3, v2
	v_and_b32_e32 v2, 0xff, v2
	v_mad_u64_u32 v[3:4], s[18:19], v1, s20, v[2:3]
	v_mov_b32_e32 v5, s7
	v_lshlrev_b32_e32 v2, 2, v2
	v_ashrrev_i32_e32 v4, 31, v3
	v_lshlrev_b64 v[3:4], 2, v[3:4]
	v_add_co_u32_e32 v3, vcc, s2, v3
	v_addc_co_u32_e32 v4, vcc, v5, v4, vcc
	global_load_dword v3, v[3:4], off
	s_movk_i32 s2, 0x88
	v_mul_lo_u32 v1, v1, s2
	v_add3_u32 v1, 0, v1, v2
	s_waitcnt vmcnt(0)
	ds_write_b32 v1, v3
.LBB1_35:
	s_or_b64 exec, exec, s[16:17]
	s_ashr_i32 s2, s3, 31
	s_mul_hi_u32 s7, s12, s3
	s_mul_i32 s2, s12, s2
	s_add_i32 s2, s7, s2
	s_mul_i32 s7, s13, s3
	s_add_i32 s2, s2, s7
	s_mul_i32 s7, s12, s3
	s_waitcnt lgkmcnt(0)
	s_add_u32 s7, s8, s7
	s_addc_u32 s2, s9, s2
	s_ashr_i32 s3, s3, 2
	v_mul_lo_u32 v1, s3, v0
	v_mov_b32_e32 v3, s2
	s_barrier
	v_ashrrev_i32_e32 v2, 31, v1
	v_lshlrev_b64 v[1:2], 2, v[1:2]
	v_add_co_u32_e32 v1, vcc, s7, v1
	v_addc_co_u32_e32 v2, vcc, v3, v2, vcc
	global_load_dwordx3 v[1:3], v[1:2], off
	s_cmp_eq_u64 s[10:11], 0
	v_lshlrev_b32_e32 v4, 2, v0
	s_cbranch_scc1 .LBB1_37
; %bb.36:
	s_lshl_b64 s[2:3], s[12:13], 2
	s_add_u32 s2, s10, s2
	s_addc_u32 s3, s11, s3
	global_load_dword v8, v4, s[2:3]
	s_branch .LBB1_38
.LBB1_37:
	v_mov_b32_e32 v8, 0
.LBB1_38:
	s_load_dwordx2 s[2:3], s[4:5], 0x40
	s_waitcnt lgkmcnt(0)
	s_sub_u32 s2, s2, s14
	s_subb_u32 s3, s3, s15
	v_cmp_lt_i64_e64 s[8:9], s[2:3], 1
	s_and_b64 vcc, exec, s[8:9]
	s_cbranch_vccnz .LBB1_41
; %bb.39:
	s_load_dwordx4 s[8:11], s[4:5], 0x30
	v_mov_b32_e32 v9, 0x7f800000
	s_waitcnt lgkmcnt(0)
	s_mul_i32 s4, s10, s6
	s_ashr_i32 s10, s4, 31
	s_add_u32 s0, s0, s4
	s_addc_u32 s1, s1, s10
	s_ashr_i32 s4, s9, 31
	s_mul_hi_u32 s5, s14, s9
	s_mul_i32 s4, s14, s4
	s_mul_i32 s6, s15, s9
	s_add_i32 s4, s5, s4
	s_mul_i32 s7, s14, s9
	s_add_i32 s4, s4, s6
	s_add_u32 s0, s0, s7
	s_addc_u32 s1, s1, s4
	s_ashr_i32 s4, s8, 31
	s_mul_hi_u32 s5, s12, s8
	s_mul_i32 s4, s12, s4
	s_add_i32 s4, s5, s4
	s_mul_i32 s5, s13, s8
	s_add_i32 s4, s4, s5
	s_mul_i32 s5, s12, s8
	s_add_u32 s6, s0, s5
	s_addc_u32 s0, s1, s4
	s_movk_i32 s1, 0x88
	v_mad_u32_u24 v0, v0, s1, 0
	s_ashr_i32 s4, s9, 2
	v_mov_b32_e32 v5, s0
	v_cmp_lt_u64_e64 s[0:1], s[2:3], 32
	ds_read_b32 v6, v0
	s_ashr_i32 s5, s4, 31
	s_and_b64 s[0:1], s[0:1], exec
	v_add_co_u32_e32 v4, vcc, s6, v4
	s_cselect_b32 s1, s3, 0
	s_cselect_b32 s0, s2, 32
	s_lshl_b64 s[2:3], s[4:5], 2
	v_addc_co_u32_e32 v5, vcc, 0, v5, vcc
	s_mov_b32 s4, 0xbfb8aa3b
	s_mov_b32 s5, 0x42ce8ed0
	s_mov_b32 s6, 0xc2b17218
	v_mov_b32_e32 v10, s3
	s_waitcnt vmcnt(0)
.LBB1_40:                               ; =>This Inner Loop Header: Depth=1
	s_waitcnt lgkmcnt(0)
	v_fma_f32 v11, v1, v6, 0
	ds_read2_b32 v[6:7], v0 offset0:1 offset1:2
	s_add_u32 s0, s0, -1
	s_addc_u32 s1, s1, -1
	v_add_u32_e32 v0, 4, v0
	s_cmp_lg_u64 s[0:1], 0
	s_waitcnt lgkmcnt(0)
	v_fmac_f32_e32 v11, v2, v6
	v_fmac_f32_e32 v11, v3, v7
	v_add_f32_e32 v7, v8, v11
	v_mul_f32_e32 v11, 0xbfb8aa3b, v7
	v_fma_f32 v12, v7, s4, -v11
	v_rndne_f32_e32 v13, v11
	v_fmac_f32_e32 v12, 0xb2a5705f, v7
	v_sub_f32_e32 v11, v11, v13
	v_add_f32_e32 v11, v11, v12
	v_cvt_i32_f32_e32 v13, v13
	v_exp_f32_e32 v11, v11
	v_cmp_nlt_f32_e32 vcc, s5, v7
	v_ldexp_f32 v11, v11, v13
	v_cndmask_b32_e32 v11, 0, v11, vcc
	v_cmp_ngt_f32_e32 vcc, s6, v7
	v_cndmask_b32_e32 v11, v9, v11, vcc
	v_add_f32_e32 v11, 1.0, v11
	v_div_scale_f32 v12, s[8:9], v11, v11, v7
	v_div_scale_f32 v13, vcc, v7, v11, v7
	v_rcp_f32_e32 v14, v12
	v_fma_f32 v15, -v12, v14, 1.0
	v_fmac_f32_e32 v14, v15, v14
	v_mul_f32_e32 v15, v13, v14
	v_fma_f32 v16, -v12, v15, v13
	v_fmac_f32_e32 v15, v16, v14
	v_fma_f32 v12, -v12, v15, v13
	v_div_fmas_f32 v12, v12, v14, v15
	v_div_fixup_f32 v7, v12, v11, v7
	global_store_dword v[4:5], v7, off
	v_add_co_u32_e32 v4, vcc, s2, v4
	v_addc_co_u32_e32 v5, vcc, v5, v10, vcc
	s_cbranch_scc1 .LBB1_40
.LBB1_41:
	s_endpgm
	.section	.rodata,"a",@progbits
	.p2align	6, 0x0
	.amdhsa_kernel _ZL23ssm_conv_long_token_f32ILb1ELm128ELm3ELl32EEvPKfS1_S1_iiiiPfiiil
		.amdhsa_group_segment_fixed_size 0
		.amdhsa_private_segment_fixed_size 0
		.amdhsa_kernarg_size 72
		.amdhsa_user_sgpr_count 6
		.amdhsa_user_sgpr_private_segment_buffer 1
		.amdhsa_user_sgpr_dispatch_ptr 0
		.amdhsa_user_sgpr_queue_ptr 0
		.amdhsa_user_sgpr_kernarg_segment_ptr 1
		.amdhsa_user_sgpr_dispatch_id 0
		.amdhsa_user_sgpr_flat_scratch_init 0
		.amdhsa_user_sgpr_private_segment_size 0
		.amdhsa_uses_dynamic_stack 0
		.amdhsa_system_sgpr_private_segment_wavefront_offset 0
		.amdhsa_system_sgpr_workgroup_id_x 1
		.amdhsa_system_sgpr_workgroup_id_y 1
		.amdhsa_system_sgpr_workgroup_id_z 1
		.amdhsa_system_sgpr_workgroup_info 0
		.amdhsa_system_vgpr_workitem_id 0
		.amdhsa_next_free_vgpr 17
		.amdhsa_next_free_sgpr 24
		.amdhsa_reserve_vcc 1
		.amdhsa_reserve_flat_scratch 0
		.amdhsa_float_round_mode_32 0
		.amdhsa_float_round_mode_16_64 0
		.amdhsa_float_denorm_mode_32 3
		.amdhsa_float_denorm_mode_16_64 3
		.amdhsa_dx10_clamp 1
		.amdhsa_ieee_mode 1
		.amdhsa_fp16_overflow 0
		.amdhsa_exception_fp_ieee_invalid_op 0
		.amdhsa_exception_fp_denorm_src 0
		.amdhsa_exception_fp_ieee_div_zero 0
		.amdhsa_exception_fp_ieee_overflow 0
		.amdhsa_exception_fp_ieee_underflow 0
		.amdhsa_exception_fp_ieee_inexact 0
		.amdhsa_exception_int_div_zero 0
	.end_amdhsa_kernel
	.section	.text._ZL23ssm_conv_long_token_f32ILb1ELm128ELm3ELl32EEvPKfS1_S1_iiiiPfiiil,"axG",@progbits,_ZL23ssm_conv_long_token_f32ILb1ELm128ELm3ELl32EEvPKfS1_S1_iiiiPfiiil,comdat
.Lfunc_end1:
	.size	_ZL23ssm_conv_long_token_f32ILb1ELm128ELm3ELl32EEvPKfS1_S1_iiiiPfiiil, .Lfunc_end1-_ZL23ssm_conv_long_token_f32ILb1ELm128ELm3ELl32EEvPKfS1_S1_iiiiPfiiil
                                        ; -- End function
	.set _ZL23ssm_conv_long_token_f32ILb1ELm128ELm3ELl32EEvPKfS1_S1_iiiiPfiiil.num_vgpr, 17
	.set _ZL23ssm_conv_long_token_f32ILb1ELm128ELm3ELl32EEvPKfS1_S1_iiiiPfiiil.num_agpr, 0
	.set _ZL23ssm_conv_long_token_f32ILb1ELm128ELm3ELl32EEvPKfS1_S1_iiiiPfiiil.numbered_sgpr, 24
	.set _ZL23ssm_conv_long_token_f32ILb1ELm128ELm3ELl32EEvPKfS1_S1_iiiiPfiiil.num_named_barrier, 0
	.set _ZL23ssm_conv_long_token_f32ILb1ELm128ELm3ELl32EEvPKfS1_S1_iiiiPfiiil.private_seg_size, 0
	.set _ZL23ssm_conv_long_token_f32ILb1ELm128ELm3ELl32EEvPKfS1_S1_iiiiPfiiil.uses_vcc, 1
	.set _ZL23ssm_conv_long_token_f32ILb1ELm128ELm3ELl32EEvPKfS1_S1_iiiiPfiiil.uses_flat_scratch, 0
	.set _ZL23ssm_conv_long_token_f32ILb1ELm128ELm3ELl32EEvPKfS1_S1_iiiiPfiiil.has_dyn_sized_stack, 0
	.set _ZL23ssm_conv_long_token_f32ILb1ELm128ELm3ELl32EEvPKfS1_S1_iiiiPfiiil.has_recursion, 0
	.set _ZL23ssm_conv_long_token_f32ILb1ELm128ELm3ELl32EEvPKfS1_S1_iiiiPfiiil.has_indirect_call, 0
	.section	.AMDGPU.csdata,"",@progbits
; Kernel info:
; codeLenInByte = 4964
; TotalNumSgprs: 28
; NumVgprs: 17
; ScratchSize: 0
; MemoryBound: 0
; FloatMode: 240
; IeeeMode: 1
; LDSByteSize: 0 bytes/workgroup (compile time only)
; SGPRBlocks: 3
; VGPRBlocks: 4
; NumSGPRsForWavesPerEU: 28
; NumVGPRsForWavesPerEU: 17
; Occupancy: 10
; WaveLimiterHint : 0
; COMPUTE_PGM_RSRC2:SCRATCH_EN: 0
; COMPUTE_PGM_RSRC2:USER_SGPR: 6
; COMPUTE_PGM_RSRC2:TRAP_HANDLER: 0
; COMPUTE_PGM_RSRC2:TGID_X_EN: 1
; COMPUTE_PGM_RSRC2:TGID_Y_EN: 1
; COMPUTE_PGM_RSRC2:TGID_Z_EN: 1
; COMPUTE_PGM_RSRC2:TIDIG_COMP_CNT: 0
	.section	.text._ZL12ssm_conv_f32ILb1ELm128ELm4EEvPKfS1_S1_iiiiPfiiil,"axG",@progbits,_ZL12ssm_conv_f32ILb1ELm128ELm4EEvPKfS1_S1_iiiiPfiiil,comdat
	.globl	_ZL12ssm_conv_f32ILb1ELm128ELm4EEvPKfS1_S1_iiiiPfiiil ; -- Begin function _ZL12ssm_conv_f32ILb1ELm128ELm4EEvPKfS1_S1_iiiiPfiiil
	.p2align	8
	.type	_ZL12ssm_conv_f32ILb1ELm128ELm4EEvPKfS1_S1_iiiiPfiiil,@function
_ZL12ssm_conv_f32ILb1ELm128ELm4EEvPKfS1_S1_iiiiPfiiil: ; @_ZL12ssm_conv_f32ILb1ELm128ELm4EEvPKfS1_S1_iiiiPfiiil
; %bb.0:
	s_load_dwordx4 s[12:15], s[4:5], 0x1c
	s_load_dwordx4 s[0:3], s[4:5], 0x0
	s_load_dwordx2 s[8:9], s[4:5], 0x10
	s_mov_b32 s10, s7
	s_ashr_i32 s11, s7, 31
	s_lshl_b64 s[16:17], s[10:11], 7
	s_waitcnt lgkmcnt(0)
	s_ashr_i32 s7, s14, 31
	s_mul_i32 s7, s16, s7
	s_mul_hi_u32 s15, s16, s14
	s_lshr_b64 s[10:11], s[10:11], 25
	s_add_i32 s7, s15, s7
	s_mul_i32 s10, s10, s14
	s_add_i32 s10, s7, s10
	s_mul_i32 s7, s16, s14
	s_add_u32 s7, s2, s7
	s_addc_u32 s10, s3, s10
	s_cmp_eq_u64 s[8:9], 0
	v_lshlrev_b32_e32 v10, 2, v0
	s_cbranch_scc1 .LBB2_2
; %bb.1:
	s_lshl_b64 s[2:3], s[16:17], 2
	s_add_u32 s2, s8, s2
	s_addc_u32 s3, s9, s3
	global_load_dword v12, v10, s[2:3]
	s_load_dwordx2 s[2:3], s[4:5], 0x40
	s_waitcnt lgkmcnt(0)
	v_cmp_lt_i64_e64 s[8:9], s[2:3], 1
	s_and_b64 vcc, exec, s[8:9]
	s_cbranch_vccz .LBB2_3
	s_branch .LBB2_6
.LBB2_2:
	v_mov_b32_e32 v12, 0
	s_load_dwordx2 s[2:3], s[4:5], 0x40
	s_waitcnt lgkmcnt(0)
	v_cmp_lt_i64_e64 s[8:9], s[2:3], 1
	s_and_b64 vcc, exec, s[8:9]
	s_cbranch_vccnz .LBB2_6
.LBB2_3:
	s_ashr_i32 s8, s14, 2
	v_mul_lo_u32 v1, s8, v0
	v_mov_b32_e32 v3, s10
	s_load_dwordx2 s[14:15], s[4:5], 0x28
	s_load_dwordx4 s[8:11], s[4:5], 0x30
	s_ashr_i32 s4, s12, 31
	s_mul_hi_u32 s5, s16, s12
	s_mul_i32 s4, s16, s4
	s_add_i32 s4, s5, s4
	s_mul_i32 s5, s17, s12
	s_waitcnt lgkmcnt(0)
	s_mul_i32 s11, s13, s6
	s_add_i32 s19, s4, s5
	s_mul_i32 s4, s10, s6
	s_ashr_i32 s13, s11, 31
	s_ashr_i32 s5, s4, 31
	s_add_u32 s6, s14, s4
	s_addc_u32 s18, s15, s5
	s_ashr_i32 s10, s8, 31
	s_mul_hi_u32 s21, s16, s8
	s_mul_i32 s10, s16, s10
	s_add_i32 s10, s21, s10
	s_mul_i32 s17, s17, s8
	s_add_i32 s10, s10, s17
	s_mul_i32 s21, s16, s8
	s_add_u32 s22, s6, s21
	s_addc_u32 s23, s18, s10
	s_add_u32 s6, s0, s11
	s_mul_i32 s20, s16, s12
	s_addc_u32 s8, s1, s13
	s_add_u32 s6, s6, s20
	s_addc_u32 s8, s8, s19
	s_ashr_i32 s12, s12, 2
	v_mul_lo_u32 v4, s12, v0
	v_ashrrev_i32_e32 v2, 31, v1
	v_lshlrev_b64 v[1:2], 2, v[1:2]
	s_mov_b32 s16, 0xbfb8aa3b
	v_ashrrev_i32_e32 v5, 31, v4
	v_add_co_u32_e32 v0, vcc, s7, v1
	v_lshlrev_b64 v[8:9], 2, v[4:5]
	v_addc_co_u32_e32 v1, vcc, v3, v2, vcc
	v_mov_b32_e32 v5, s8
	v_add_co_u32_e32 v4, vcc, s6, v8
	v_addc_co_u32_e32 v5, vcc, v5, v9, vcc
	global_load_dwordx4 v[0:3], v[0:1], off
	s_mov_b32 s17, 0x42ce8ed0
	global_load_dwordx4 v[4:7], v[4:5], off
	s_mov_b32 s18, 0xc2b17218
	s_cmp_eq_u64 s[2:3], 1
	s_waitcnt vmcnt(0)
	v_fma_f32 v11, v0, v4, 0
	v_fmac_f32_e32 v11, v1, v5
	v_fmac_f32_e32 v11, v2, v6
	;; [unrolled: 1-line block ×3, first 2 shown]
	v_add_f32_e32 v11, v12, v11
	v_mul_f32_e32 v13, 0xbfb8aa3b, v11
	v_fma_f32 v14, v11, s16, -v13
	v_rndne_f32_e32 v15, v13
	v_fmac_f32_e32 v14, 0xb2a5705f, v11
	v_sub_f32_e32 v13, v13, v15
	v_add_f32_e32 v13, v13, v14
	v_cvt_i32_f32_e32 v15, v15
	v_exp_f32_e32 v14, v13
	v_cmp_nlt_f32_e32 vcc, s17, v11
	v_mov_b32_e32 v13, 0x7f800000
	v_ldexp_f32 v14, v14, v15
	v_cndmask_b32_e32 v14, 0, v14, vcc
	v_cmp_ngt_f32_e32 vcc, s18, v11
	v_cndmask_b32_e32 v14, v13, v14, vcc
	v_add_f32_e32 v14, 1.0, v14
	v_div_scale_f32 v15, s[6:7], v14, v14, v11
	v_div_scale_f32 v16, vcc, v11, v14, v11
	v_rcp_f32_e32 v17, v15
	v_fma_f32 v18, -v15, v17, 1.0
	v_fmac_f32_e32 v17, v18, v17
	v_mul_f32_e32 v18, v16, v17
	v_fma_f32 v19, -v15, v18, v16
	v_fmac_f32_e32 v18, v19, v17
	v_fma_f32 v15, -v15, v18, v16
	v_div_fmas_f32 v15, v15, v17, v18
	v_div_fixup_f32 v11, v15, v14, v11
	global_store_dword v10, v11, s[22:23]
	s_cbranch_scc1 .LBB2_6
; %bb.4:
	s_ashr_i32 s8, s9, 2
	s_ashr_i32 s9, s8, 31
	s_add_u32 s6, s2, -1
	s_addc_u32 s7, s3, -1
	s_add_u32 s0, s0, s11
	s_addc_u32 s1, s1, s13
	s_add_u32 s0, s0, s20
	s_addc_u32 s1, s1, s19
	s_lshl_b64 s[8:9], s[8:9], 2
	v_add_co_u32_e32 v8, vcc, s0, v8
	s_add_u32 s0, s21, s8
	v_mov_b32_e32 v11, s1
	s_addc_u32 s1, s10, s9
	s_add_u32 s2, s14, s4
	v_addc_co_u32_e32 v9, vcc, v11, v9, vcc
	s_addc_u32 s3, s15, s5
	v_add_co_u32_e32 v8, vcc, 16, v8
	s_add_u32 s0, s2, s0
	v_addc_co_u32_e32 v9, vcc, 0, v9, vcc
	s_addc_u32 s1, s3, s1
	v_mov_b32_e32 v11, s1
	v_add_co_u32_e32 v10, vcc, s0, v10
	v_addc_co_u32_e32 v11, vcc, 0, v11, vcc
	s_mov_b64 s[12:13], 0
.LBB2_5:                                ; =>This Inner Loop Header: Depth=1
	global_load_dword v14, v[8:9], off
	s_add_u32 s10, s12, 1
	s_addc_u32 s11, s13, 0
	s_add_i32 s0, s12, 4
	s_and_b32 s4, s0, 3
	s_cmp_eq_u32 s4, 3
	s_cselect_b64 vcc, -1, 0
	s_cmp_eq_u32 s4, 2
	s_cselect_b64 s[0:1], -1, 0
	s_cmp_eq_u32 s4, 1
	s_cselect_b64 s[2:3], -1, 0
	;; [unrolled: 2-line block ×3, first 2 shown]
	s_and_b32 s13, s10, 3
	s_cmp_eq_u32 s13, 1
	s_waitcnt vmcnt(0)
	v_cndmask_b32_e32 v7, v7, v14, vcc
	v_cndmask_b32_e64 v5, v5, v14, s[2:3]
	v_cndmask_b32_e64 v4, v4, v14, s[4:5]
	s_cselect_b64 vcc, -1, 0
	s_cmp_eq_u32 s13, 2
	v_cndmask_b32_e64 v6, v6, v14, s[0:1]
	v_cndmask_b32_e32 v15, v4, v5, vcc
	s_cselect_b64 vcc, -1, 0
	s_cmp_eq_u32 s13, 3
	v_cndmask_b32_e32 v15, v15, v6, vcc
	s_cselect_b64 vcc, -1, 0
	s_add_i32 s0, s12, 2
	s_and_b32 s0, s0, 3
	s_cmp_eq_u32 s0, 1
	v_cndmask_b32_e32 v15, v15, v7, vcc
	s_cselect_b64 vcc, -1, 0
	s_cmp_eq_u32 s0, 2
	v_cndmask_b32_e32 v16, v4, v5, vcc
	s_cselect_b64 vcc, -1, 0
	;; [unrolled: 3-line block ×3, first 2 shown]
	s_xor_b32 s0, s13, 2
	s_cmp_eq_u32 s0, 1
	v_fma_f32 v15, v0, v15, 0
	v_cndmask_b32_e32 v16, v16, v7, vcc
	s_cselect_b64 vcc, -1, 0
	s_cmp_eq_u32 s0, 2
	v_fmac_f32_e32 v15, v1, v16
	v_cndmask_b32_e32 v16, v4, v5, vcc
	s_cselect_b64 vcc, -1, 0
	s_cmp_eq_u32 s0, 3
	v_cndmask_b32_e32 v16, v16, v6, vcc
	s_cselect_b64 vcc, -1, 0
	v_cndmask_b32_e32 v16, v16, v7, vcc
	v_fmac_f32_e32 v15, v2, v16
	v_fmac_f32_e32 v15, v3, v14
	v_add_f32_e32 v14, v12, v15
	v_mul_f32_e32 v15, 0xbfb8aa3b, v14
	v_fma_f32 v16, v14, s16, -v15
	v_rndne_f32_e32 v17, v15
	v_fmac_f32_e32 v16, 0xb2a5705f, v14
	v_sub_f32_e32 v15, v15, v17
	v_add_f32_e32 v15, v15, v16
	v_cvt_i32_f32_e32 v17, v17
	v_exp_f32_e32 v15, v15
	v_cmp_nlt_f32_e32 vcc, s17, v14
	s_mov_b64 s[12:13], s[10:11]
	s_cmp_eq_u64 s[6:7], s[10:11]
	v_ldexp_f32 v15, v15, v17
	v_cndmask_b32_e32 v15, 0, v15, vcc
	v_cmp_ngt_f32_e32 vcc, s18, v14
	v_cndmask_b32_e32 v15, v13, v15, vcc
	v_add_f32_e32 v15, 1.0, v15
	v_div_scale_f32 v16, s[0:1], v15, v15, v14
	v_div_scale_f32 v17, vcc, v14, v15, v14
	v_rcp_f32_e32 v18, v16
	v_fma_f32 v19, -v16, v18, 1.0
	v_fmac_f32_e32 v18, v19, v18
	v_mul_f32_e32 v19, v17, v18
	v_fma_f32 v20, -v16, v19, v17
	v_fmac_f32_e32 v19, v20, v18
	v_fma_f32 v16, -v16, v19, v17
	v_div_fmas_f32 v16, v16, v18, v19
	v_add_co_u32_e32 v8, vcc, 4, v8
	v_addc_co_u32_e32 v9, vcc, 0, v9, vcc
	v_mov_b32_e32 v17, s9
	v_div_fixup_f32 v14, v16, v15, v14
	global_store_dword v[10:11], v14, off
	v_add_co_u32_e32 v10, vcc, s8, v10
	v_addc_co_u32_e32 v11, vcc, v11, v17, vcc
	s_cbranch_scc0 .LBB2_5
.LBB2_6:
	s_endpgm
	.section	.rodata,"a",@progbits
	.p2align	6, 0x0
	.amdhsa_kernel _ZL12ssm_conv_f32ILb1ELm128ELm4EEvPKfS1_S1_iiiiPfiiil
		.amdhsa_group_segment_fixed_size 0
		.amdhsa_private_segment_fixed_size 0
		.amdhsa_kernarg_size 72
		.amdhsa_user_sgpr_count 6
		.amdhsa_user_sgpr_private_segment_buffer 1
		.amdhsa_user_sgpr_dispatch_ptr 0
		.amdhsa_user_sgpr_queue_ptr 0
		.amdhsa_user_sgpr_kernarg_segment_ptr 1
		.amdhsa_user_sgpr_dispatch_id 0
		.amdhsa_user_sgpr_flat_scratch_init 0
		.amdhsa_user_sgpr_private_segment_size 0
		.amdhsa_uses_dynamic_stack 0
		.amdhsa_system_sgpr_private_segment_wavefront_offset 0
		.amdhsa_system_sgpr_workgroup_id_x 1
		.amdhsa_system_sgpr_workgroup_id_y 1
		.amdhsa_system_sgpr_workgroup_id_z 0
		.amdhsa_system_sgpr_workgroup_info 0
		.amdhsa_system_vgpr_workitem_id 0
		.amdhsa_next_free_vgpr 21
		.amdhsa_next_free_sgpr 24
		.amdhsa_reserve_vcc 1
		.amdhsa_reserve_flat_scratch 0
		.amdhsa_float_round_mode_32 0
		.amdhsa_float_round_mode_16_64 0
		.amdhsa_float_denorm_mode_32 3
		.amdhsa_float_denorm_mode_16_64 3
		.amdhsa_dx10_clamp 1
		.amdhsa_ieee_mode 1
		.amdhsa_fp16_overflow 0
		.amdhsa_exception_fp_ieee_invalid_op 0
		.amdhsa_exception_fp_denorm_src 0
		.amdhsa_exception_fp_ieee_div_zero 0
		.amdhsa_exception_fp_ieee_overflow 0
		.amdhsa_exception_fp_ieee_underflow 0
		.amdhsa_exception_fp_ieee_inexact 0
		.amdhsa_exception_int_div_zero 0
	.end_amdhsa_kernel
	.section	.text._ZL12ssm_conv_f32ILb1ELm128ELm4EEvPKfS1_S1_iiiiPfiiil,"axG",@progbits,_ZL12ssm_conv_f32ILb1ELm128ELm4EEvPKfS1_S1_iiiiPfiiil,comdat
.Lfunc_end2:
	.size	_ZL12ssm_conv_f32ILb1ELm128ELm4EEvPKfS1_S1_iiiiPfiiil, .Lfunc_end2-_ZL12ssm_conv_f32ILb1ELm128ELm4EEvPKfS1_S1_iiiiPfiiil
                                        ; -- End function
	.set _ZL12ssm_conv_f32ILb1ELm128ELm4EEvPKfS1_S1_iiiiPfiiil.num_vgpr, 21
	.set _ZL12ssm_conv_f32ILb1ELm128ELm4EEvPKfS1_S1_iiiiPfiiil.num_agpr, 0
	.set _ZL12ssm_conv_f32ILb1ELm128ELm4EEvPKfS1_S1_iiiiPfiiil.numbered_sgpr, 24
	.set _ZL12ssm_conv_f32ILb1ELm128ELm4EEvPKfS1_S1_iiiiPfiiil.num_named_barrier, 0
	.set _ZL12ssm_conv_f32ILb1ELm128ELm4EEvPKfS1_S1_iiiiPfiiil.private_seg_size, 0
	.set _ZL12ssm_conv_f32ILb1ELm128ELm4EEvPKfS1_S1_iiiiPfiiil.uses_vcc, 1
	.set _ZL12ssm_conv_f32ILb1ELm128ELm4EEvPKfS1_S1_iiiiPfiiil.uses_flat_scratch, 0
	.set _ZL12ssm_conv_f32ILb1ELm128ELm4EEvPKfS1_S1_iiiiPfiiil.has_dyn_sized_stack, 0
	.set _ZL12ssm_conv_f32ILb1ELm128ELm4EEvPKfS1_S1_iiiiPfiiil.has_recursion, 0
	.set _ZL12ssm_conv_f32ILb1ELm128ELm4EEvPKfS1_S1_iiiiPfiiil.has_indirect_call, 0
	.section	.AMDGPU.csdata,"",@progbits
; Kernel info:
; codeLenInByte = 1128
; TotalNumSgprs: 28
; NumVgprs: 21
; ScratchSize: 0
; MemoryBound: 0
; FloatMode: 240
; IeeeMode: 1
; LDSByteSize: 0 bytes/workgroup (compile time only)
; SGPRBlocks: 3
; VGPRBlocks: 5
; NumSGPRsForWavesPerEU: 28
; NumVGPRsForWavesPerEU: 21
; Occupancy: 10
; WaveLimiterHint : 0
; COMPUTE_PGM_RSRC2:SCRATCH_EN: 0
; COMPUTE_PGM_RSRC2:USER_SGPR: 6
; COMPUTE_PGM_RSRC2:TRAP_HANDLER: 0
; COMPUTE_PGM_RSRC2:TGID_X_EN: 1
; COMPUTE_PGM_RSRC2:TGID_Y_EN: 1
; COMPUTE_PGM_RSRC2:TGID_Z_EN: 0
; COMPUTE_PGM_RSRC2:TIDIG_COMP_CNT: 0
	.section	.text._ZL23ssm_conv_long_token_f32ILb1ELm128ELm4ELl32EEvPKfS1_S1_iiiiPfiiil,"axG",@progbits,_ZL23ssm_conv_long_token_f32ILb1ELm128ELm4ELl32EEvPKfS1_S1_iiiiPfiiil,comdat
	.globl	_ZL23ssm_conv_long_token_f32ILb1ELm128ELm4ELl32EEvPKfS1_S1_iiiiPfiiil ; -- Begin function _ZL23ssm_conv_long_token_f32ILb1ELm128ELm4ELl32EEvPKfS1_S1_iiiiPfiiil
	.p2align	8
	.type	_ZL23ssm_conv_long_token_f32ILb1ELm128ELm4ELl32EEvPKfS1_S1_iiiiPfiiil,@function
_ZL23ssm_conv_long_token_f32ILb1ELm128ELm4ELl32EEvPKfS1_S1_iiiiPfiiil: ; @_ZL23ssm_conv_long_token_f32ILb1ELm128ELm4ELl32EEvPKfS1_S1_iiiiPfiiil
; %bb.0:
	s_load_dwordx2 s[12:13], s[4:5], 0x0
	s_load_dwordx4 s[0:3], s[4:5], 0x18
	s_mov_b32 s10, s7
	v_mul_u32_u24_e32 v1, 0x751, v0
	v_lshrrev_b32_e32 v4, 16, v1
	v_mul_lo_u16_e32 v1, 35, v4
	s_waitcnt lgkmcnt(0)
	s_mul_i32 s2, s2, s6
	s_ashr_i32 s7, s2, 31
	s_add_u32 s2, s12, s2
	s_addc_u32 s7, s13, s7
	s_ashr_i32 s11, s10, 31
	s_lshl_b64 s[12:13], s[10:11], 7
	s_ashr_i32 s9, s1, 31
	s_mul_i32 s9, s12, s9
	s_mul_hi_u32 s14, s12, s1
	s_lshr_b64 s[10:11], s[10:11], 25
	s_add_i32 s9, s14, s9
	s_mul_i32 s10, s10, s1
	s_add_i32 s9, s9, s10
	s_mul_i32 s10, s12, s1
	s_add_u32 s2, s2, s10
	s_addc_u32 s7, s7, s9
	s_ashr_i32 s9, s8, 31
	s_lshl_b64 s[14:15], s[8:9], 5
	s_ashr_i32 s10, s0, 31
	s_mul_i32 s10, s14, s10
	s_mul_hi_u32 s11, s14, s0
	s_lshr_b64 s[8:9], s[8:9], 27
	s_add_i32 s10, s11, s10
	s_mul_i32 s8, s8, s0
	s_add_i32 s10, s10, s8
	s_mul_i32 s0, s14, s0
	s_add_u32 s2, s2, s0
	s_addc_u32 s7, s7, s10
	s_ashr_i32 s20, s1, 2
	v_sub_u16_e32 v1, v0, v1
	v_mad_u64_u32 v[2:3], s[0:1], s20, v4, v[1:2]
	v_mov_b32_e32 v5, s7
	s_movk_i32 s9, 0x8c
	v_ashrrev_i32_e32 v3, 31, v2
	v_lshlrev_b64 v[2:3], 2, v[2:3]
	s_movk_i32 s8, 0x80
	v_add_co_u32_e32 v2, vcc, s2, v2
	v_addc_co_u32_e32 v3, vcc, v5, v3, vcc
	global_load_dword v2, v[2:3], off
	v_mul_u32_u24_e32 v3, 0x8c, v4
	v_lshlrev_b32_e32 v5, 2, v1
	v_add3_u32 v3, 0, v3, v5
	v_or_b32_e32 v1, 0x80, v1
	v_mov_b32_e32 v5, s7
	s_waitcnt vmcnt(0)
	ds_write_b32 v3, v2
	v_mul_lo_u16_e32 v2, 0xeb, v1
	v_lshrrev_b16_e32 v2, 13, v2
	v_add_u32_e32 v4, v4, v2
	v_mul_lo_u16_e32 v2, 35, v2
	v_sub_u16_e32 v1, v1, v2
	v_and_b32_e32 v1, 0xff, v1
	v_mad_u64_u32 v[2:3], s[0:1], v4, s20, v[1:2]
	v_ashrrev_i32_e32 v3, 31, v2
	v_lshlrev_b64 v[2:3], 2, v[2:3]
	v_add_co_u32_e32 v2, vcc, s2, v2
	v_addc_co_u32_e32 v3, vcc, v5, v3, vcc
	global_load_dword v2, v[2:3], off
	v_mul_u32_u24_e32 v3, 0x8c, v4
	v_lshlrev_b32_e32 v5, 2, v1
	v_add3_u32 v3, 0, v3, v5
	v_or_b32_e32 v1, 0x80, v1
	v_mov_b32_e32 v5, s7
	s_waitcnt vmcnt(0)
	ds_write_b32 v3, v2
	v_mul_lo_u16_e32 v2, 0xeb, v1
	v_lshrrev_b16_e32 v2, 13, v2
	v_add_u32_e32 v4, v4, v2
	v_mul_lo_u16_e32 v2, 35, v2
	v_sub_u16_e32 v1, v1, v2
	v_and_b32_e32 v1, 0xff, v1
	v_mad_u64_u32 v[2:3], s[0:1], v4, s20, v[1:2]
	v_ashrrev_i32_e32 v3, 31, v2
	v_lshlrev_b64 v[2:3], 2, v[2:3]
	;; [unrolled: 19-line block ×6, first 2 shown]
	v_add_co_u32_e32 v2, vcc, s2, v2
	v_addc_co_u32_e32 v3, vcc, v5, v3, vcc
	global_load_dword v2, v[2:3], off
	v_mul_lo_u32 v3, v4, s9
	v_lshlrev_b32_e32 v5, 2, v1
	v_or_b32_e32 v1, 0x80, v1
	v_add3_u32 v3, 0, v3, v5
	v_mov_b32_e32 v5, s7
	s_waitcnt vmcnt(0)
	ds_write_b32 v3, v2
	v_mul_lo_u16_e32 v2, 0xeb, v1
	v_lshrrev_b16_e32 v2, 13, v2
	v_add_u32_e32 v4, v4, v2
	v_mul_lo_u16_e32 v2, 35, v2
	v_sub_u16_e32 v1, v1, v2
	v_and_b32_e32 v1, 0xff, v1
	v_mad_u64_u32 v[2:3], s[0:1], v4, s20, v[1:2]
	v_ashrrev_i32_e32 v3, 31, v2
	v_lshlrev_b64 v[2:3], 2, v[2:3]
	v_add_co_u32_e32 v2, vcc, s2, v2
	v_addc_co_u32_e32 v3, vcc, v5, v3, vcc
	global_load_dword v2, v[2:3], off
	v_mul_lo_u32 v3, v4, s9
	v_lshlrev_b32_e32 v5, 2, v1
	v_or_b32_e32 v1, 0x80, v1
	v_add3_u32 v3, 0, v3, v5
	v_mov_b32_e32 v5, s7
	s_waitcnt vmcnt(0)
	ds_write_b32 v3, v2
	v_mul_lo_u16_e32 v2, 0xeb, v1
	v_lshrrev_b16_e32 v2, 13, v2
	v_add_u32_e32 v4, v4, v2
	v_mul_lo_u16_e32 v2, 35, v2
	v_sub_u16_e32 v1, v1, v2
	v_and_b32_e32 v1, 0xff, v1
	v_mad_u64_u32 v[2:3], s[0:1], v4, s20, v[1:2]
	v_ashrrev_i32_e32 v3, 31, v2
	v_lshlrev_b64 v[2:3], 2, v[2:3]
	;; [unrolled: 19-line block ×13, first 2 shown]
	v_add_co_u32_e32 v2, vcc, s2, v2
	v_addc_co_u32_e32 v3, vcc, v5, v3, vcc
	global_load_dword v2, v[2:3], off
	v_mul_lo_u32 v3, v4, s9
	v_lshlrev_b32_e32 v5, 2, v1
	v_or_b32_e32 v1, 0x80, v1
	v_add3_u32 v3, 0, v3, v5
	s_waitcnt vmcnt(0)
	ds_write_b32 v3, v2
	v_mul_lo_u16_e32 v2, 0xeb, v1
	v_lshrrev_b16_e32 v3, 13, v2
	v_add_u32_e32 v2, v4, v3
	v_mul_lo_u16_e32 v3, 35, v3
	v_sub_u16_e32 v1, v1, v3
	v_and_b32_e32 v1, 0xff, v1
	v_cmp_gt_u32_e32 vcc, s8, v2
	s_and_saveexec_b64 s[0:1], vcc
	s_cbranch_execz .LBB3_2
; %bb.1:
	v_mad_u64_u32 v[3:4], s[10:11], v2, s20, v[1:2]
	v_mov_b32_e32 v5, s7
	v_ashrrev_i32_e32 v4, 31, v3
	v_lshlrev_b64 v[3:4], 2, v[3:4]
	v_add_co_u32_e32 v3, vcc, s2, v3
	v_addc_co_u32_e32 v4, vcc, v5, v4, vcc
	global_load_dword v3, v[3:4], off
	v_mul_lo_u32 v4, v2, s9
	v_lshlrev_b32_e32 v5, 2, v1
	v_add3_u32 v4, 0, v4, v5
	s_waitcnt vmcnt(0)
	ds_write_b32 v4, v3
.LBB3_2:
	s_or_b64 exec, exec, s[0:1]
	v_or_b32_e32 v1, 0x80, v1
	v_mul_lo_u16_e32 v3, 0xeb, v1
	v_lshrrev_b16_e32 v3, 13, v3
	v_add_u32_e32 v2, v2, v3
	v_mul_lo_u16_e32 v3, 35, v3
	v_sub_u16_e32 v1, v1, v3
	v_and_b32_e32 v1, 0xff, v1
	v_cmp_gt_u32_e32 vcc, s8, v2
	s_and_saveexec_b64 s[0:1], vcc
	s_cbranch_execz .LBB3_4
; %bb.3:
	v_mad_u64_u32 v[3:4], s[8:9], v2, s20, v[1:2]
	v_mov_b32_e32 v5, s7
	s_movk_i32 s8, 0x8c
	v_ashrrev_i32_e32 v4, 31, v3
	v_lshlrev_b64 v[3:4], 2, v[3:4]
	v_add_co_u32_e32 v3, vcc, s2, v3
	v_addc_co_u32_e32 v4, vcc, v5, v4, vcc
	global_load_dword v3, v[3:4], off
	v_mul_lo_u32 v4, v2, s8
	v_lshlrev_b32_e32 v5, 2, v1
	v_add3_u32 v4, 0, v4, v5
	s_waitcnt vmcnt(0)
	ds_write_b32 v4, v3
.LBB3_4:
	s_or_b64 exec, exec, s[0:1]
	v_or_b32_e32 v1, 0x80, v1
	v_mul_lo_u16_e32 v3, 0xeb, v1
	v_lshrrev_b16_e32 v3, 13, v3
	v_add_u32_e32 v2, v2, v3
	v_mul_lo_u16_e32 v3, 35, v3
	s_movk_i32 s8, 0x80
	v_sub_u16_e32 v1, v1, v3
	v_and_b32_e32 v1, 0xff, v1
	v_cmp_gt_u32_e32 vcc, s8, v2
	s_and_saveexec_b64 s[0:1], vcc
	s_cbranch_execz .LBB3_6
; %bb.5:
	v_mad_u64_u32 v[3:4], s[10:11], v2, s20, v[1:2]
	v_mov_b32_e32 v5, s7
	s_movk_i32 s9, 0x8c
	v_ashrrev_i32_e32 v4, 31, v3
	v_lshlrev_b64 v[3:4], 2, v[3:4]
	v_add_co_u32_e32 v3, vcc, s2, v3
	v_addc_co_u32_e32 v4, vcc, v5, v4, vcc
	global_load_dword v3, v[3:4], off
	v_mul_lo_u32 v4, v2, s9
	v_lshlrev_b32_e32 v5, 2, v1
	v_add3_u32 v4, 0, v4, v5
	s_waitcnt vmcnt(0)
	ds_write_b32 v4, v3
.LBB3_6:
	s_or_b64 exec, exec, s[0:1]
	v_or_b32_e32 v1, 0x80, v1
	v_mul_lo_u16_e32 v3, 0xeb, v1
	v_lshrrev_b16_e32 v3, 13, v3
	v_add_u32_e32 v2, v2, v3
	v_mul_lo_u16_e32 v3, 35, v3
	v_sub_u16_e32 v1, v1, v3
	v_and_b32_e32 v1, 0xff, v1
	v_cmp_gt_u32_e32 vcc, s8, v2
	s_and_saveexec_b64 s[0:1], vcc
	s_cbranch_execz .LBB3_8
; %bb.7:
	v_mad_u64_u32 v[3:4], s[8:9], v2, s20, v[1:2]
	v_mov_b32_e32 v5, s7
	s_movk_i32 s8, 0x8c
	v_ashrrev_i32_e32 v4, 31, v3
	v_lshlrev_b64 v[3:4], 2, v[3:4]
	v_add_co_u32_e32 v3, vcc, s2, v3
	v_addc_co_u32_e32 v4, vcc, v5, v4, vcc
	global_load_dword v3, v[3:4], off
	v_mul_lo_u32 v4, v2, s8
	v_lshlrev_b32_e32 v5, 2, v1
	v_add3_u32 v4, 0, v4, v5
	s_waitcnt vmcnt(0)
	ds_write_b32 v4, v3
.LBB3_8:
	s_or_b64 exec, exec, s[0:1]
	v_or_b32_e32 v1, 0x80, v1
	v_mul_lo_u16_e32 v3, 0xeb, v1
	v_lshrrev_b16_e32 v3, 13, v3
	v_add_u32_e32 v2, v2, v3
	v_mul_lo_u16_e32 v3, 35, v3
	s_movk_i32 s8, 0x80
	v_sub_u16_e32 v1, v1, v3
	v_and_b32_e32 v1, 0xff, v1
	v_cmp_gt_u32_e32 vcc, s8, v2
	s_and_saveexec_b64 s[0:1], vcc
	s_cbranch_execz .LBB3_10
; %bb.9:
	v_mad_u64_u32 v[3:4], s[10:11], v2, s20, v[1:2]
	v_mov_b32_e32 v5, s7
	s_movk_i32 s9, 0x8c
	v_ashrrev_i32_e32 v4, 31, v3
	v_lshlrev_b64 v[3:4], 2, v[3:4]
	v_add_co_u32_e32 v3, vcc, s2, v3
	v_addc_co_u32_e32 v4, vcc, v5, v4, vcc
	global_load_dword v3, v[3:4], off
	v_mul_lo_u32 v4, v2, s9
	v_lshlrev_b32_e32 v5, 2, v1
	v_add3_u32 v4, 0, v4, v5
	s_waitcnt vmcnt(0)
	ds_write_b32 v4, v3
.LBB3_10:
	;; [unrolled: 53-line block ×3, first 2 shown]
	s_or_b64 exec, exec, s[0:1]
	v_or_b32_e32 v1, 0x80, v1
	v_mul_lo_u16_e32 v3, 0xeb, v1
	v_lshrrev_b16_e32 v3, 13, v3
	v_add_u32_e32 v2, v2, v3
	v_mul_lo_u16_e32 v3, 35, v3
	v_sub_u16_e32 v1, v1, v3
	v_and_b32_e32 v1, 0xff, v1
	v_cmp_gt_u32_e32 vcc, s8, v2
	s_and_saveexec_b64 s[0:1], vcc
	s_cbranch_execz .LBB3_16
; %bb.15:
	v_mad_u64_u32 v[3:4], s[8:9], v2, s20, v[1:2]
	v_mov_b32_e32 v5, s7
	s_movk_i32 s8, 0x8c
	v_ashrrev_i32_e32 v4, 31, v3
	v_lshlrev_b64 v[3:4], 2, v[3:4]
	v_add_co_u32_e32 v3, vcc, s2, v3
	v_addc_co_u32_e32 v4, vcc, v5, v4, vcc
	global_load_dword v3, v[3:4], off
	v_mul_lo_u32 v4, v2, s8
	v_lshlrev_b32_e32 v5, 2, v1
	v_add3_u32 v4, 0, v4, v5
	s_waitcnt vmcnt(0)
	ds_write_b32 v4, v3
.LBB3_16:
	s_or_b64 exec, exec, s[0:1]
	s_load_dwordx4 s[8:11], s[4:5], 0x8
	s_load_dwordx2 s[0:1], s[4:5], 0x28
	s_movk_i32 s16, 0x380
	v_cmp_gt_u32_e32 vcc, s16, v0
	s_and_saveexec_b64 s[16:17], vcc
	s_cbranch_execz .LBB3_37
; %bb.17:
	v_or_b32_e32 v1, 0x80, v1
	v_mul_lo_u16_e32 v3, 0xeb, v1
	v_lshrrev_b16_e32 v3, 13, v3
	v_add_u32_e32 v2, v2, v3
	v_mul_lo_u16_e32 v3, 35, v3
	s_movk_i32 s18, 0x80
	v_sub_u16_e32 v1, v1, v3
	v_and_b32_e32 v1, 0xff, v1
	v_cmp_gt_u32_e32 vcc, s18, v2
	s_and_saveexec_b64 s[18:19], vcc
	s_cbranch_execz .LBB3_19
; %bb.18:
	v_mad_u64_u32 v[3:4], s[22:23], v2, s20, v[1:2]
	v_mov_b32_e32 v5, s7
	s_movk_i32 s21, 0x8c
	v_ashrrev_i32_e32 v4, 31, v3
	v_lshlrev_b64 v[3:4], 2, v[3:4]
	v_add_co_u32_e32 v3, vcc, s2, v3
	v_addc_co_u32_e32 v4, vcc, v5, v4, vcc
	global_load_dword v3, v[3:4], off
	v_mul_lo_u32 v4, v2, s21
	v_lshlrev_b32_e32 v5, 2, v1
	v_add3_u32 v4, 0, v4, v5
	s_waitcnt vmcnt(0)
	ds_write_b32 v4, v3
.LBB3_19:
	s_or_b64 exec, exec, s[18:19]
	s_movk_i32 s18, 0x300
	v_cmp_gt_u32_e32 vcc, s18, v0
	s_and_b64 exec, exec, vcc
	s_cbranch_execz .LBB3_37
; %bb.20:
	v_or_b32_e32 v1, 0x80, v1
	v_mul_lo_u16_e32 v3, 0xeb, v1
	v_lshrrev_b16_e32 v3, 13, v3
	v_add_u32_e32 v2, v2, v3
	v_mul_lo_u16_e32 v3, 35, v3
	s_movk_i32 s18, 0x80
	v_sub_u16_e32 v1, v1, v3
	v_and_b32_e32 v1, 0xff, v1
	v_cmp_gt_u32_e32 vcc, s18, v2
	s_and_saveexec_b64 s[18:19], vcc
	s_cbranch_execz .LBB3_22
; %bb.21:
	v_mad_u64_u32 v[3:4], s[22:23], v2, s20, v[1:2]
	v_mov_b32_e32 v5, s7
	s_movk_i32 s21, 0x8c
	v_ashrrev_i32_e32 v4, 31, v3
	v_lshlrev_b64 v[3:4], 2, v[3:4]
	v_add_co_u32_e32 v3, vcc, s2, v3
	v_addc_co_u32_e32 v4, vcc, v5, v4, vcc
	global_load_dword v3, v[3:4], off
	v_mul_lo_u32 v4, v2, s21
	v_lshlrev_b32_e32 v5, 2, v1
	v_add3_u32 v4, 0, v4, v5
	s_waitcnt vmcnt(0)
	ds_write_b32 v4, v3
.LBB3_22:
	s_or_b64 exec, exec, s[18:19]
	s_movk_i32 s18, 0x280
	v_cmp_gt_u32_e32 vcc, s18, v0
	s_and_b64 exec, exec, vcc
	;; [unrolled: 32-line block ×5, first 2 shown]
	s_cbranch_execz .LBB3_37
; %bb.32:
	v_or_b32_e32 v1, 0x80, v1
	v_mul_lo_u16_e32 v3, 0xeb, v1
	v_lshrrev_b16_e32 v3, 13, v3
	v_add_u32_e32 v2, v2, v3
	v_mul_lo_u16_e32 v3, 35, v3
	s_movk_i32 s21, 0x80
	v_sub_u16_e32 v1, v1, v3
	v_and_b32_e32 v1, 0xff, v1
	v_cmp_gt_u32_e32 vcc, s21, v2
	s_and_saveexec_b64 s[18:19], vcc
	s_cbranch_execz .LBB3_34
; %bb.33:
	v_mad_u64_u32 v[3:4], s[22:23], v2, s20, v[1:2]
	v_mov_b32_e32 v5, s7
	s_movk_i32 s22, 0x8c
	v_ashrrev_i32_e32 v4, 31, v3
	v_lshlrev_b64 v[3:4], 2, v[3:4]
	v_add_co_u32_e32 v3, vcc, s2, v3
	v_addc_co_u32_e32 v4, vcc, v5, v4, vcc
	global_load_dword v3, v[3:4], off
	v_mul_lo_u32 v4, v2, s22
	v_lshlrev_b32_e32 v5, 2, v1
	v_add3_u32 v4, 0, v4, v5
	s_waitcnt vmcnt(0)
	ds_write_b32 v4, v3
.LBB3_34:
	s_or_b64 exec, exec, s[18:19]
	v_cmp_gt_u32_e32 vcc, s21, v0
	s_and_b64 exec, exec, vcc
	s_cbranch_execz .LBB3_37
; %bb.35:
	v_or_b32_e32 v3, 0x80, v1
	v_mul_lo_u16_e32 v1, 0xeb, v3
	v_lshrrev_b16_e32 v4, 13, v1
	s_movk_i32 s18, 0x80
	v_add_u32_e32 v1, v2, v4
	v_cmp_gt_u32_e32 vcc, s18, v1
	s_and_b64 exec, exec, vcc
	s_cbranch_execz .LBB3_37
; %bb.36:
	v_mul_lo_u16_e32 v2, 35, v4
	v_sub_u16_e32 v2, v3, v2
	v_and_b32_e32 v2, 0xff, v2
	v_mad_u64_u32 v[3:4], s[18:19], v1, s20, v[2:3]
	v_mov_b32_e32 v5, s7
	v_lshlrev_b32_e32 v2, 2, v2
	v_ashrrev_i32_e32 v4, 31, v3
	v_lshlrev_b64 v[3:4], 2, v[3:4]
	v_add_co_u32_e32 v3, vcc, s2, v3
	v_addc_co_u32_e32 v4, vcc, v5, v4, vcc
	global_load_dword v3, v[3:4], off
	s_movk_i32 s2, 0x8c
	v_mul_lo_u32 v1, v1, s2
	v_add3_u32 v1, 0, v1, v2
	s_waitcnt vmcnt(0)
	ds_write_b32 v1, v3
.LBB3_37:
	s_or_b64 exec, exec, s[16:17]
	s_ashr_i32 s2, s3, 31
	s_mul_hi_u32 s7, s12, s3
	s_mul_i32 s2, s12, s2
	s_add_i32 s2, s7, s2
	s_mul_i32 s7, s13, s3
	s_add_i32 s2, s2, s7
	s_mul_i32 s7, s12, s3
	s_waitcnt lgkmcnt(0)
	s_add_u32 s7, s8, s7
	s_addc_u32 s2, s9, s2
	s_ashr_i32 s3, s3, 2
	v_mul_lo_u32 v1, s3, v0
	v_mov_b32_e32 v3, s2
	s_barrier
	v_ashrrev_i32_e32 v2, 31, v1
	v_lshlrev_b64 v[1:2], 2, v[1:2]
	v_add_co_u32_e32 v1, vcc, s7, v1
	v_addc_co_u32_e32 v2, vcc, v3, v2, vcc
	global_load_dwordx4 v[1:4], v[1:2], off
	s_cmp_eq_u64 s[10:11], 0
	v_lshlrev_b32_e32 v5, 2, v0
	s_cbranch_scc1 .LBB3_39
; %bb.38:
	s_lshl_b64 s[2:3], s[12:13], 2
	s_add_u32 s2, s10, s2
	s_addc_u32 s3, s11, s3
	global_load_dword v9, v5, s[2:3]
	s_branch .LBB3_40
.LBB3_39:
	v_mov_b32_e32 v9, 0
.LBB3_40:
	s_load_dwordx2 s[2:3], s[4:5], 0x40
	s_waitcnt lgkmcnt(0)
	s_sub_u32 s2, s2, s14
	s_subb_u32 s3, s3, s15
	v_cmp_lt_i64_e64 s[8:9], s[2:3], 1
	s_and_b64 vcc, exec, s[8:9]
	s_cbranch_vccnz .LBB3_43
; %bb.41:
	s_load_dwordx4 s[8:11], s[4:5], 0x30
	v_mov_b32_e32 v10, 0x7f800000
	s_waitcnt lgkmcnt(0)
	s_mul_i32 s4, s10, s6
	s_ashr_i32 s10, s4, 31
	s_add_u32 s0, s0, s4
	s_addc_u32 s1, s1, s10
	s_ashr_i32 s4, s9, 31
	s_mul_hi_u32 s5, s14, s9
	s_mul_i32 s4, s14, s4
	s_mul_i32 s6, s15, s9
	s_add_i32 s4, s5, s4
	s_mul_i32 s7, s14, s9
	s_add_i32 s4, s4, s6
	s_add_u32 s0, s0, s7
	s_addc_u32 s1, s1, s4
	s_ashr_i32 s4, s8, 31
	s_mul_hi_u32 s5, s12, s8
	s_mul_i32 s4, s12, s4
	s_add_i32 s4, s5, s4
	s_mul_i32 s5, s13, s8
	s_add_i32 s4, s4, s5
	s_mul_i32 s5, s12, s8
	s_add_u32 s6, s0, s5
	s_addc_u32 s0, s1, s4
	s_movk_i32 s1, 0x8c
	v_mad_u32_u24 v0, v0, s1, 0
	s_ashr_i32 s4, s9, 2
	v_mov_b32_e32 v6, s0
	v_cmp_lt_u64_e64 s[0:1], s[2:3], 32
	ds_read_b32 v7, v0
	s_ashr_i32 s5, s4, 31
	s_and_b64 s[0:1], s[0:1], exec
	v_add_co_u32_e32 v5, vcc, s6, v5
	s_cselect_b32 s1, s3, 0
	s_cselect_b32 s0, s2, 32
	s_lshl_b64 s[2:3], s[4:5], 2
	v_addc_co_u32_e32 v6, vcc, 0, v6, vcc
	s_mov_b32 s4, 0xbfb8aa3b
	s_mov_b32 s5, 0x42ce8ed0
	;; [unrolled: 1-line block ×3, first 2 shown]
	v_mov_b32_e32 v11, s3
	s_waitcnt vmcnt(0)
.LBB3_42:                               ; =>This Inner Loop Header: Depth=1
	s_waitcnt lgkmcnt(0)
	v_fma_f32 v12, v1, v7, 0
	ds_read2_b32 v[7:8], v0 offset0:1 offset1:2
	ds_read_b32 v13, v0 offset:12
	s_add_u32 s0, s0, -1
	s_addc_u32 s1, s1, -1
	v_add_u32_e32 v0, 4, v0
	s_waitcnt lgkmcnt(1)
	v_fmac_f32_e32 v12, v2, v7
	v_fmac_f32_e32 v12, v3, v8
	s_waitcnt lgkmcnt(0)
	v_fmac_f32_e32 v12, v4, v13
	v_add_f32_e32 v8, v9, v12
	v_mul_f32_e32 v12, 0xbfb8aa3b, v8
	v_fma_f32 v13, v8, s4, -v12
	v_rndne_f32_e32 v14, v12
	v_fmac_f32_e32 v13, 0xb2a5705f, v8
	v_sub_f32_e32 v12, v12, v14
	v_add_f32_e32 v12, v12, v13
	v_cvt_i32_f32_e32 v14, v14
	v_exp_f32_e32 v12, v12
	v_cmp_nlt_f32_e32 vcc, s5, v8
	s_cmp_lg_u64 s[0:1], 0
	v_ldexp_f32 v12, v12, v14
	v_cndmask_b32_e32 v12, 0, v12, vcc
	v_cmp_ngt_f32_e32 vcc, s6, v8
	v_cndmask_b32_e32 v12, v10, v12, vcc
	v_add_f32_e32 v12, 1.0, v12
	v_div_scale_f32 v13, s[8:9], v12, v12, v8
	v_div_scale_f32 v14, vcc, v8, v12, v8
	v_rcp_f32_e32 v15, v13
	v_fma_f32 v16, -v13, v15, 1.0
	v_fmac_f32_e32 v15, v16, v15
	v_mul_f32_e32 v16, v14, v15
	v_fma_f32 v17, -v13, v16, v14
	v_fmac_f32_e32 v16, v17, v15
	v_fma_f32 v13, -v13, v16, v14
	v_div_fmas_f32 v13, v13, v15, v16
	v_div_fixup_f32 v8, v13, v12, v8
	global_store_dword v[5:6], v8, off
	v_add_co_u32_e32 v5, vcc, s2, v5
	v_addc_co_u32_e32 v6, vcc, v6, v11, vcc
	s_cbranch_scc1 .LBB3_42
.LBB3_43:
	s_endpgm
	.section	.rodata,"a",@progbits
	.p2align	6, 0x0
	.amdhsa_kernel _ZL23ssm_conv_long_token_f32ILb1ELm128ELm4ELl32EEvPKfS1_S1_iiiiPfiiil
		.amdhsa_group_segment_fixed_size 0
		.amdhsa_private_segment_fixed_size 0
		.amdhsa_kernarg_size 72
		.amdhsa_user_sgpr_count 6
		.amdhsa_user_sgpr_private_segment_buffer 1
		.amdhsa_user_sgpr_dispatch_ptr 0
		.amdhsa_user_sgpr_queue_ptr 0
		.amdhsa_user_sgpr_kernarg_segment_ptr 1
		.amdhsa_user_sgpr_dispatch_id 0
		.amdhsa_user_sgpr_flat_scratch_init 0
		.amdhsa_user_sgpr_private_segment_size 0
		.amdhsa_uses_dynamic_stack 0
		.amdhsa_system_sgpr_private_segment_wavefront_offset 0
		.amdhsa_system_sgpr_workgroup_id_x 1
		.amdhsa_system_sgpr_workgroup_id_y 1
		.amdhsa_system_sgpr_workgroup_id_z 1
		.amdhsa_system_sgpr_workgroup_info 0
		.amdhsa_system_vgpr_workitem_id 0
		.amdhsa_next_free_vgpr 18
		.amdhsa_next_free_sgpr 24
		.amdhsa_reserve_vcc 1
		.amdhsa_reserve_flat_scratch 0
		.amdhsa_float_round_mode_32 0
		.amdhsa_float_round_mode_16_64 0
		.amdhsa_float_denorm_mode_32 3
		.amdhsa_float_denorm_mode_16_64 3
		.amdhsa_dx10_clamp 1
		.amdhsa_ieee_mode 1
		.amdhsa_fp16_overflow 0
		.amdhsa_exception_fp_ieee_invalid_op 0
		.amdhsa_exception_fp_denorm_src 0
		.amdhsa_exception_fp_ieee_div_zero 0
		.amdhsa_exception_fp_ieee_overflow 0
		.amdhsa_exception_fp_ieee_underflow 0
		.amdhsa_exception_fp_ieee_inexact 0
		.amdhsa_exception_int_div_zero 0
	.end_amdhsa_kernel
	.section	.text._ZL23ssm_conv_long_token_f32ILb1ELm128ELm4ELl32EEvPKfS1_S1_iiiiPfiiil,"axG",@progbits,_ZL23ssm_conv_long_token_f32ILb1ELm128ELm4ELl32EEvPKfS1_S1_iiiiPfiiil,comdat
.Lfunc_end3:
	.size	_ZL23ssm_conv_long_token_f32ILb1ELm128ELm4ELl32EEvPKfS1_S1_iiiiPfiiil, .Lfunc_end3-_ZL23ssm_conv_long_token_f32ILb1ELm128ELm4ELl32EEvPKfS1_S1_iiiiPfiiil
                                        ; -- End function
	.set _ZL23ssm_conv_long_token_f32ILb1ELm128ELm4ELl32EEvPKfS1_S1_iiiiPfiiil.num_vgpr, 18
	.set _ZL23ssm_conv_long_token_f32ILb1ELm128ELm4ELl32EEvPKfS1_S1_iiiiPfiiil.num_agpr, 0
	.set _ZL23ssm_conv_long_token_f32ILb1ELm128ELm4ELl32EEvPKfS1_S1_iiiiPfiiil.numbered_sgpr, 24
	.set _ZL23ssm_conv_long_token_f32ILb1ELm128ELm4ELl32EEvPKfS1_S1_iiiiPfiiil.num_named_barrier, 0
	.set _ZL23ssm_conv_long_token_f32ILb1ELm128ELm4ELl32EEvPKfS1_S1_iiiiPfiiil.private_seg_size, 0
	.set _ZL23ssm_conv_long_token_f32ILb1ELm128ELm4ELl32EEvPKfS1_S1_iiiiPfiiil.uses_vcc, 1
	.set _ZL23ssm_conv_long_token_f32ILb1ELm128ELm4ELl32EEvPKfS1_S1_iiiiPfiiil.uses_flat_scratch, 0
	.set _ZL23ssm_conv_long_token_f32ILb1ELm128ELm4ELl32EEvPKfS1_S1_iiiiPfiiil.has_dyn_sized_stack, 0
	.set _ZL23ssm_conv_long_token_f32ILb1ELm128ELm4ELl32EEvPKfS1_S1_iiiiPfiiil.has_recursion, 0
	.set _ZL23ssm_conv_long_token_f32ILb1ELm128ELm4ELl32EEvPKfS1_S1_iiiiPfiiil.has_indirect_call, 0
	.section	.AMDGPU.csdata,"",@progbits
; Kernel info:
; codeLenInByte = 5112
; TotalNumSgprs: 28
; NumVgprs: 18
; ScratchSize: 0
; MemoryBound: 0
; FloatMode: 240
; IeeeMode: 1
; LDSByteSize: 0 bytes/workgroup (compile time only)
; SGPRBlocks: 3
; VGPRBlocks: 4
; NumSGPRsForWavesPerEU: 28
; NumVGPRsForWavesPerEU: 18
; Occupancy: 10
; WaveLimiterHint : 0
; COMPUTE_PGM_RSRC2:SCRATCH_EN: 0
; COMPUTE_PGM_RSRC2:USER_SGPR: 6
; COMPUTE_PGM_RSRC2:TRAP_HANDLER: 0
; COMPUTE_PGM_RSRC2:TGID_X_EN: 1
; COMPUTE_PGM_RSRC2:TGID_Y_EN: 1
; COMPUTE_PGM_RSRC2:TGID_Z_EN: 1
; COMPUTE_PGM_RSRC2:TIDIG_COMP_CNT: 0
	.section	.text._ZL12ssm_conv_f32ILb1ELm128ELm5EEvPKfS1_S1_iiiiPfiiil,"axG",@progbits,_ZL12ssm_conv_f32ILb1ELm128ELm5EEvPKfS1_S1_iiiiPfiiil,comdat
	.globl	_ZL12ssm_conv_f32ILb1ELm128ELm5EEvPKfS1_S1_iiiiPfiiil ; -- Begin function _ZL12ssm_conv_f32ILb1ELm128ELm5EEvPKfS1_S1_iiiiPfiiil
	.p2align	8
	.type	_ZL12ssm_conv_f32ILb1ELm128ELm5EEvPKfS1_S1_iiiiPfiiil,@function
_ZL12ssm_conv_f32ILb1ELm128ELm5EEvPKfS1_S1_iiiiPfiiil: ; @_ZL12ssm_conv_f32ILb1ELm128ELm5EEvPKfS1_S1_iiiiPfiiil
; %bb.0:
	s_load_dwordx4 s[12:15], s[4:5], 0x1c
	s_load_dwordx4 s[0:3], s[4:5], 0x0
	s_load_dwordx2 s[8:9], s[4:5], 0x10
	s_mov_b32 s10, s7
	s_ashr_i32 s11, s7, 31
	s_lshl_b64 s[16:17], s[10:11], 7
	s_waitcnt lgkmcnt(0)
	s_ashr_i32 s7, s14, 31
	s_mul_i32 s7, s16, s7
	s_mul_hi_u32 s15, s16, s14
	s_lshr_b64 s[10:11], s[10:11], 25
	s_add_i32 s7, s15, s7
	s_mul_i32 s10, s10, s14
	s_add_i32 s7, s7, s10
	s_mul_i32 s10, s16, s14
	s_add_u32 s19, s2, s10
	s_addc_u32 s7, s3, s7
	s_cmp_eq_u64 s[8:9], 0
	v_lshlrev_b32_e32 v10, 2, v0
	s_cbranch_scc1 .LBB4_2
; %bb.1:
	s_lshl_b64 s[2:3], s[16:17], 2
	s_add_u32 s2, s8, s2
	s_addc_u32 s3, s9, s3
	global_load_dword v12, v10, s[2:3]
	s_load_dwordx2 s[2:3], s[4:5], 0x40
	s_waitcnt lgkmcnt(0)
	v_cmp_lt_i64_e64 s[8:9], s[2:3], 1
	s_and_b64 vcc, exec, s[8:9]
	s_cbranch_vccz .LBB4_3
	s_branch .LBB4_6
.LBB4_2:
	v_mov_b32_e32 v12, 0
	s_load_dwordx2 s[2:3], s[4:5], 0x40
	s_waitcnt lgkmcnt(0)
	v_cmp_lt_i64_e64 s[8:9], s[2:3], 1
	s_and_b64 vcc, exec, s[8:9]
	s_cbranch_vccnz .LBB4_6
.LBB4_3:
	s_ashr_i32 s8, s14, 2
	v_mul_lo_u32 v1, s8, v0
	s_load_dwordx2 s[14:15], s[4:5], 0x28
	s_load_dwordx4 s[8:11], s[4:5], 0x30
	s_ashr_i32 s4, s12, 31
	s_mul_hi_u32 s5, s16, s12
	s_mul_i32 s4, s16, s4
	s_add_i32 s4, s5, s4
	s_mul_i32 s5, s17, s12
	v_mov_b32_e32 v3, s7
	s_mul_i32 s7, s13, s6
	s_add_i32 s13, s4, s5
	s_waitcnt lgkmcnt(0)
	s_mul_i32 s4, s10, s6
	s_ashr_i32 s11, s7, 31
	s_ashr_i32 s5, s4, 31
	s_add_u32 s10, s14, s4
	s_addc_u32 s21, s15, s5
	s_ashr_i32 s6, s8, 31
	s_mul_hi_u32 s20, s16, s8
	s_mul_i32 s6, s16, s6
	s_add_i32 s6, s20, s6
	s_mul_i32 s17, s17, s8
	s_mul_i32 s18, s16, s12
	s_add_i32 s6, s6, s17
	s_mul_i32 s16, s16, s8
	s_add_u32 s20, s10, s16
	s_addc_u32 s21, s21, s6
	s_add_u32 s8, s0, s7
	s_addc_u32 s10, s1, s11
	;; [unrolled: 2-line block ×3, first 2 shown]
	s_ashr_i32 s12, s12, 2
	v_mul_lo_u32 v4, s12, v0
	v_ashrrev_i32_e32 v2, 31, v1
	v_lshlrev_b64 v[1:2], 2, v[1:2]
	s_mov_b32 s24, 0xbfb8aa3b
	v_ashrrev_i32_e32 v5, 31, v4
	v_add_co_u32_e32 v15, vcc, s19, v1
	v_lshlrev_b64 v[8:9], 2, v[4:5]
	v_addc_co_u32_e32 v16, vcc, v3, v2, vcc
	global_load_dwordx4 v[0:3], v[15:16], off
	v_mov_b32_e32 v4, s10
	v_add_co_u32_e32 v17, vcc, s8, v8
	v_addc_co_u32_e32 v18, vcc, v4, v9, vcc
	global_load_dwordx4 v[4:7], v[17:18], off
	global_load_dword v13, v[17:18], off offset:16
	global_load_dword v14, v[15:16], off offset:16
	s_mov_b32 s25, 0x42ce8ed0
	s_mov_b32 s26, 0xc2b17218
	s_cmp_eq_u64 s[2:3], 1
	s_waitcnt vmcnt(2)
	v_fma_f32 v11, v0, v4, 0
	v_fmac_f32_e32 v11, v1, v5
	v_fmac_f32_e32 v11, v2, v6
	;; [unrolled: 1-line block ×3, first 2 shown]
	s_waitcnt vmcnt(0)
	v_fmac_f32_e32 v11, v14, v13
	v_add_f32_e32 v11, v12, v11
	v_mul_f32_e32 v15, 0xbfb8aa3b, v11
	v_fma_f32 v16, v11, s24, -v15
	v_rndne_f32_e32 v17, v15
	v_fmac_f32_e32 v16, 0xb2a5705f, v11
	v_sub_f32_e32 v15, v15, v17
	v_add_f32_e32 v15, v15, v16
	v_cvt_i32_f32_e32 v17, v17
	v_exp_f32_e32 v16, v15
	v_cmp_nlt_f32_e32 vcc, s25, v11
	v_mov_b32_e32 v15, 0x7f800000
	v_ldexp_f32 v16, v16, v17
	v_cndmask_b32_e32 v16, 0, v16, vcc
	v_cmp_ngt_f32_e32 vcc, s26, v11
	v_cndmask_b32_e32 v16, v15, v16, vcc
	v_add_f32_e32 v16, 1.0, v16
	v_div_scale_f32 v17, s[22:23], v16, v16, v11
	v_rcp_f32_e32 v18, v17
	v_fma_f32 v19, -v17, v18, 1.0
	v_fmac_f32_e32 v18, v19, v18
	v_div_scale_f32 v19, vcc, v11, v16, v11
	v_mul_f32_e32 v20, v19, v18
	v_fma_f32 v21, -v17, v20, v19
	v_fmac_f32_e32 v20, v21, v18
	v_fma_f32 v17, -v17, v20, v19
	v_div_fmas_f32 v17, v17, v18, v20
	v_div_fixup_f32 v11, v17, v16, v11
	global_store_dword v10, v11, s[20:21]
	s_cbranch_scc1 .LBB4_6
; %bb.4:
	s_ashr_i32 s20, s9, 2
	s_ashr_i32 s21, s20, 31
	s_add_u32 s8, s2, -1
	s_addc_u32 s9, s3, -1
	s_add_u32 s0, s0, s7
	s_addc_u32 s1, s1, s11
	s_add_u32 s0, s0, s18
	s_addc_u32 s1, s1, s13
	s_lshl_b64 s[10:11], s[20:21], 2
	v_add_co_u32_e32 v8, vcc, s0, v8
	s_add_u32 s0, s16, s10
	v_mov_b32_e32 v11, s1
	s_addc_u32 s1, s6, s11
	s_add_u32 s2, s14, s4
	v_addc_co_u32_e32 v9, vcc, v11, v9, vcc
	s_addc_u32 s3, s15, s5
	v_add_co_u32_e32 v8, vcc, 20, v8
	s_add_u32 s0, s2, s0
	v_addc_co_u32_e32 v9, vcc, 0, v9, vcc
	s_addc_u32 s1, s3, s1
	v_mov_b32_e32 v11, s1
	v_add_co_u32_e32 v10, vcc, s0, v10
	v_addc_co_u32_e32 v11, vcc, 0, v11, vcc
	s_mov_b64 s[12:13], 1
	s_mov_b64 s[14:15], 5
	;; [unrolled: 1-line block ×6, first 2 shown]
.LBB4_5:                                ; =>This Inner Loop Header: Depth=1
	global_load_dword v16, v[8:9], off
	s_mul_i32 s3, s13, 0xcccccccd
	s_mul_hi_u32 s4, s12, 0xcccccccd
	s_mul_hi_u32 s2, s13, 0xcccccccd
	s_add_u32 s3, s3, s4
	s_mul_i32 s1, s12, 0xcccccccc
	s_addc_u32 s2, s2, 0
	s_mul_hi_u32 s0, s12, 0xcccccccc
	s_add_u32 s1, s1, s3
	s_addc_u32 s0, s0, 0
	s_add_u32 s0, s2, s0
	s_mul_i32 s6, s13, 0xcccccccc
	s_addc_u32 s1, 0, 0
	s_mul_hi_u32 s5, s13, 0xcccccccc
	s_add_u32 s0, s6, s0
	s_addc_u32 s1, s5, s1
	s_lshr_b64 s[0:1], s[0:1], 2
	s_mul_i32 s0, s0, 5
	s_mul_i32 s29, s15, 0xcccccccd
	s_mul_hi_u32 s30, s14, 0xcccccccd
	s_sub_i32 s61, s12, s0
	s_mul_hi_u32 s28, s15, 0xcccccccd
	s_add_u32 s0, s29, s30
	s_mul_i32 s27, s14, 0xcccccccc
	s_addc_u32 s1, s28, 0
	s_mul_hi_u32 s7, s14, 0xcccccccc
	s_add_u32 s0, s27, s0
	s_addc_u32 s0, s7, 0
	s_add_u32 s0, s1, s0
	s_mul_i32 s33, s15, 0xcccccccc
	s_addc_u32 s1, 0, 0
	s_mul_hi_u32 s31, s15, 0xcccccccc
	s_add_u32 s0, s33, s0
	s_addc_u32 s1, s31, s1
	s_lshr_b64 s[0:1], s[0:1], 2
	s_mul_i32 s0, s0, 5
	s_mul_i32 s37, s17, 0xcccccccd
	s_mul_hi_u32 s38, s16, 0xcccccccd
	s_sub_i32 s27, s14, s0
	;; [unrolled: 18-line block ×5, first 2 shown]
	s_mul_hi_u32 s57, s23, 0xcccccccd
	s_add_u32 s0, s58, s59
	s_mul_i32 s56, s22, 0xcccccccc
	s_addc_u32 s1, s57, 0
	s_mul_hi_u32 s55, s22, 0xcccccccc
	s_add_u32 s0, s56, s0
	s_addc_u32 s0, s55, 0
	s_add_u32 s0, s1, s0
	s_mul_i32 s4, s23, 0xcccccccc
	s_addc_u32 s1, 0, 0
	s_mul_hi_u32 s60, s23, 0xcccccccc
	s_add_u32 s0, s4, s0
	s_addc_u32 s1, s60, s1
	s_lshr_b64 s[0:1], s[0:1], 2
	s_mul_i32 s0, s0, 5
	s_sub_i32 s6, s22, s0
	s_cmp_eq_u32 s6, 4
	s_cselect_b64 vcc, -1, 0
	s_cmp_eq_u32 s6, 3
	s_cselect_b64 s[0:1], -1, 0
	s_cmp_eq_u32 s6, 2
	s_cselect_b64 s[2:3], -1, 0
	;; [unrolled: 2-line block ×4, first 2 shown]
	s_cmp_eq_u32 s61, 1
	s_waitcnt vmcnt(0)
	v_cndmask_b32_e32 v13, v13, v16, vcc
	v_cndmask_b32_e64 v5, v5, v16, s[4:5]
	v_cndmask_b32_e64 v4, v4, v16, s[6:7]
	s_cselect_b64 vcc, -1, 0
	s_cmp_eq_u32 s61, 2
	v_cndmask_b32_e64 v7, v7, v16, s[0:1]
	v_cndmask_b32_e64 v6, v6, v16, s[2:3]
	v_cndmask_b32_e32 v16, v4, v5, vcc
	s_cselect_b64 vcc, -1, 0
	s_cmp_eq_u32 s61, 3
	v_cndmask_b32_e32 v16, v16, v6, vcc
	s_cselect_b64 vcc, -1, 0
	s_cmp_eq_u32 s61, 4
	v_cndmask_b32_e32 v16, v16, v7, vcc
	s_cselect_b64 vcc, -1, 0
	s_add_u32 s12, s12, 1
	s_addc_u32 s13, s13, 0
	s_cmp_eq_u32 s30, 1
	v_cndmask_b32_e32 v16, v16, v13, vcc
	s_cselect_b64 vcc, -1, 0
	s_cmp_eq_u32 s30, 2
	v_cndmask_b32_e32 v17, v4, v5, vcc
	s_cselect_b64 vcc, -1, 0
	;; [unrolled: 3-line block ×4, first 2 shown]
	s_cmp_eq_u32 s29, 1
	v_fma_f32 v16, v0, v16, 0
	v_cndmask_b32_e32 v17, v17, v13, vcc
	s_cselect_b64 vcc, -1, 0
	s_cmp_eq_u32 s29, 2
	v_fmac_f32_e32 v16, v1, v17
	v_cndmask_b32_e32 v17, v4, v5, vcc
	s_cselect_b64 vcc, -1, 0
	s_cmp_eq_u32 s29, 3
	v_cndmask_b32_e32 v17, v17, v6, vcc
	s_cselect_b64 vcc, -1, 0
	s_cmp_eq_u32 s29, 4
	;; [unrolled: 3-line block ×4, first 2 shown]
	v_fmac_f32_e32 v16, v2, v17
	v_cndmask_b32_e32 v17, v4, v5, vcc
	s_cselect_b64 vcc, -1, 0
	s_cmp_eq_u32 s28, 3
	v_cndmask_b32_e32 v17, v17, v6, vcc
	s_cselect_b64 vcc, -1, 0
	s_cmp_eq_u32 s28, 4
	;; [unrolled: 3-line block ×4, first 2 shown]
	v_fmac_f32_e32 v16, v3, v17
	v_cndmask_b32_e32 v17, v4, v5, vcc
	s_cselect_b64 vcc, -1, 0
	s_cmp_eq_u32 s27, 3
	v_cndmask_b32_e32 v17, v17, v6, vcc
	s_cselect_b64 vcc, -1, 0
	s_cmp_eq_u32 s27, 4
	v_cndmask_b32_e32 v17, v17, v7, vcc
	s_cselect_b64 vcc, -1, 0
	v_cndmask_b32_e32 v17, v17, v13, vcc
	v_fmac_f32_e32 v16, v14, v17
	v_add_f32_e32 v16, v12, v16
	v_mul_f32_e32 v17, 0xbfb8aa3b, v16
	v_fma_f32 v18, v16, s24, -v17
	v_rndne_f32_e32 v19, v17
	v_fmac_f32_e32 v18, 0xb2a5705f, v16
	v_sub_f32_e32 v17, v17, v19
	v_add_f32_e32 v17, v17, v18
	v_cvt_i32_f32_e32 v19, v19
	v_exp_f32_e32 v17, v17
	v_cmp_nlt_f32_e32 vcc, s25, v16
	s_add_u32 s14, s14, 1
	s_addc_u32 s15, s15, 0
	v_ldexp_f32 v17, v17, v19
	v_cndmask_b32_e32 v17, 0, v17, vcc
	v_cmp_ngt_f32_e32 vcc, s26, v16
	v_cndmask_b32_e32 v17, v15, v17, vcc
	v_add_f32_e32 v17, 1.0, v17
	v_div_scale_f32 v18, s[0:1], v17, v17, v16
	s_add_u32 s16, s16, 1
	s_addc_u32 s17, s17, 0
	s_add_u32 s18, s18, 1
	s_addc_u32 s19, s19, 0
	s_add_u32 s8, s8, -1
	s_addc_u32 s9, s9, -1
	s_add_u32 s20, s20, 1
	s_addc_u32 s21, s21, 0
	s_add_u32 s22, s22, 1
	s_addc_u32 s23, s23, 0
	s_cmp_eq_u64 s[8:9], 0
	v_rcp_f32_e32 v19, v18
	v_fma_f32 v20, -v18, v19, 1.0
	v_fmac_f32_e32 v19, v20, v19
	v_div_scale_f32 v20, vcc, v16, v17, v16
	v_mul_f32_e32 v21, v20, v19
	v_fma_f32 v22, -v18, v21, v20
	v_fmac_f32_e32 v21, v22, v19
	v_fma_f32 v18, -v18, v21, v20
	v_div_fmas_f32 v18, v18, v19, v21
	v_add_co_u32_e32 v8, vcc, 4, v8
	v_addc_co_u32_e32 v9, vcc, 0, v9, vcc
	v_mov_b32_e32 v19, s11
	v_div_fixup_f32 v16, v18, v17, v16
	global_store_dword v[10:11], v16, off
	v_add_co_u32_e32 v10, vcc, s10, v10
	v_addc_co_u32_e32 v11, vcc, v11, v19, vcc
	s_cbranch_scc0 .LBB4_5
.LBB4_6:
	s_endpgm
	.section	.rodata,"a",@progbits
	.p2align	6, 0x0
	.amdhsa_kernel _ZL12ssm_conv_f32ILb1ELm128ELm5EEvPKfS1_S1_iiiiPfiiil
		.amdhsa_group_segment_fixed_size 0
		.amdhsa_private_segment_fixed_size 0
		.amdhsa_kernarg_size 72
		.amdhsa_user_sgpr_count 6
		.amdhsa_user_sgpr_private_segment_buffer 1
		.amdhsa_user_sgpr_dispatch_ptr 0
		.amdhsa_user_sgpr_queue_ptr 0
		.amdhsa_user_sgpr_kernarg_segment_ptr 1
		.amdhsa_user_sgpr_dispatch_id 0
		.amdhsa_user_sgpr_flat_scratch_init 0
		.amdhsa_user_sgpr_private_segment_size 0
		.amdhsa_uses_dynamic_stack 0
		.amdhsa_system_sgpr_private_segment_wavefront_offset 0
		.amdhsa_system_sgpr_workgroup_id_x 1
		.amdhsa_system_sgpr_workgroup_id_y 1
		.amdhsa_system_sgpr_workgroup_id_z 0
		.amdhsa_system_sgpr_workgroup_info 0
		.amdhsa_system_vgpr_workitem_id 0
		.amdhsa_next_free_vgpr 23
		.amdhsa_next_free_sgpr 62
		.amdhsa_reserve_vcc 1
		.amdhsa_reserve_flat_scratch 0
		.amdhsa_float_round_mode_32 0
		.amdhsa_float_round_mode_16_64 0
		.amdhsa_float_denorm_mode_32 3
		.amdhsa_float_denorm_mode_16_64 3
		.amdhsa_dx10_clamp 1
		.amdhsa_ieee_mode 1
		.amdhsa_fp16_overflow 0
		.amdhsa_exception_fp_ieee_invalid_op 0
		.amdhsa_exception_fp_denorm_src 0
		.amdhsa_exception_fp_ieee_div_zero 0
		.amdhsa_exception_fp_ieee_overflow 0
		.amdhsa_exception_fp_ieee_underflow 0
		.amdhsa_exception_fp_ieee_inexact 0
		.amdhsa_exception_int_div_zero 0
	.end_amdhsa_kernel
	.section	.text._ZL12ssm_conv_f32ILb1ELm128ELm5EEvPKfS1_S1_iiiiPfiiil,"axG",@progbits,_ZL12ssm_conv_f32ILb1ELm128ELm5EEvPKfS1_S1_iiiiPfiiil,comdat
.Lfunc_end4:
	.size	_ZL12ssm_conv_f32ILb1ELm128ELm5EEvPKfS1_S1_iiiiPfiiil, .Lfunc_end4-_ZL12ssm_conv_f32ILb1ELm128ELm5EEvPKfS1_S1_iiiiPfiiil
                                        ; -- End function
	.set _ZL12ssm_conv_f32ILb1ELm128ELm5EEvPKfS1_S1_iiiiPfiiil.num_vgpr, 23
	.set _ZL12ssm_conv_f32ILb1ELm128ELm5EEvPKfS1_S1_iiiiPfiiil.num_agpr, 0
	.set _ZL12ssm_conv_f32ILb1ELm128ELm5EEvPKfS1_S1_iiiiPfiiil.numbered_sgpr, 62
	.set _ZL12ssm_conv_f32ILb1ELm128ELm5EEvPKfS1_S1_iiiiPfiiil.num_named_barrier, 0
	.set _ZL12ssm_conv_f32ILb1ELm128ELm5EEvPKfS1_S1_iiiiPfiiil.private_seg_size, 0
	.set _ZL12ssm_conv_f32ILb1ELm128ELm5EEvPKfS1_S1_iiiiPfiiil.uses_vcc, 1
	.set _ZL12ssm_conv_f32ILb1ELm128ELm5EEvPKfS1_S1_iiiiPfiiil.uses_flat_scratch, 0
	.set _ZL12ssm_conv_f32ILb1ELm128ELm5EEvPKfS1_S1_iiiiPfiiil.has_dyn_sized_stack, 0
	.set _ZL12ssm_conv_f32ILb1ELm128ELm5EEvPKfS1_S1_iiiiPfiiil.has_recursion, 0
	.set _ZL12ssm_conv_f32ILb1ELm128ELm5EEvPKfS1_S1_iiiiPfiiil.has_indirect_call, 0
	.section	.AMDGPU.csdata,"",@progbits
; Kernel info:
; codeLenInByte = 1944
; TotalNumSgprs: 66
; NumVgprs: 23
; ScratchSize: 0
; MemoryBound: 0
; FloatMode: 240
; IeeeMode: 1
; LDSByteSize: 0 bytes/workgroup (compile time only)
; SGPRBlocks: 8
; VGPRBlocks: 5
; NumSGPRsForWavesPerEU: 66
; NumVGPRsForWavesPerEU: 23
; Occupancy: 10
; WaveLimiterHint : 0
; COMPUTE_PGM_RSRC2:SCRATCH_EN: 0
; COMPUTE_PGM_RSRC2:USER_SGPR: 6
; COMPUTE_PGM_RSRC2:TRAP_HANDLER: 0
; COMPUTE_PGM_RSRC2:TGID_X_EN: 1
; COMPUTE_PGM_RSRC2:TGID_Y_EN: 1
; COMPUTE_PGM_RSRC2:TGID_Z_EN: 0
; COMPUTE_PGM_RSRC2:TIDIG_COMP_CNT: 0
	.section	.text._ZL23ssm_conv_long_token_f32ILb1ELm128ELm5ELl32EEvPKfS1_S1_iiiiPfiiil,"axG",@progbits,_ZL23ssm_conv_long_token_f32ILb1ELm128ELm5ELl32EEvPKfS1_S1_iiiiPfiiil,comdat
	.globl	_ZL23ssm_conv_long_token_f32ILb1ELm128ELm5ELl32EEvPKfS1_S1_iiiiPfiiil ; -- Begin function _ZL23ssm_conv_long_token_f32ILb1ELm128ELm5ELl32EEvPKfS1_S1_iiiiPfiiil
	.p2align	8
	.type	_ZL23ssm_conv_long_token_f32ILb1ELm128ELm5ELl32EEvPKfS1_S1_iiiiPfiiil,@function
_ZL23ssm_conv_long_token_f32ILb1ELm128ELm5ELl32EEvPKfS1_S1_iiiiPfiiil: ; @_ZL23ssm_conv_long_token_f32ILb1ELm128ELm5ELl32EEvPKfS1_S1_iiiiPfiiil
; %bb.0:
	s_load_dwordx2 s[12:13], s[4:5], 0x0
	s_load_dwordx4 s[0:3], s[4:5], 0x18
	s_mov_b32 s10, s7
	v_mul_u32_u24_e32 v1, 0x71d, v0
	v_lshrrev_b32_e32 v4, 16, v1
	v_mul_lo_u16_e32 v1, 36, v4
	s_waitcnt lgkmcnt(0)
	s_mul_i32 s2, s2, s6
	s_ashr_i32 s7, s2, 31
	s_add_u32 s2, s12, s2
	s_addc_u32 s7, s13, s7
	s_ashr_i32 s11, s10, 31
	s_lshl_b64 s[12:13], s[10:11], 7
	s_ashr_i32 s9, s1, 31
	s_mul_i32 s9, s12, s9
	s_mul_hi_u32 s14, s12, s1
	s_lshr_b64 s[10:11], s[10:11], 25
	s_add_i32 s9, s14, s9
	s_mul_i32 s10, s10, s1
	s_add_i32 s9, s9, s10
	s_mul_i32 s10, s12, s1
	s_add_u32 s2, s2, s10
	s_addc_u32 s7, s7, s9
	s_ashr_i32 s9, s8, 31
	s_lshl_b64 s[14:15], s[8:9], 5
	s_ashr_i32 s10, s0, 31
	s_mul_i32 s10, s14, s10
	s_mul_hi_u32 s11, s14, s0
	s_lshr_b64 s[8:9], s[8:9], 27
	s_add_i32 s10, s11, s10
	s_mul_i32 s8, s8, s0
	s_add_i32 s10, s10, s8
	s_mul_i32 s0, s14, s0
	s_add_u32 s2, s2, s0
	s_addc_u32 s7, s7, s10
	s_ashr_i32 s20, s1, 2
	v_sub_u16_e32 v1, v0, v1
	v_mad_u64_u32 v[2:3], s[0:1], s20, v4, v[1:2]
	v_mov_b32_e32 v5, s7
	s_movk_i32 s9, 0x90
	v_ashrrev_i32_e32 v3, 31, v2
	v_lshlrev_b64 v[2:3], 2, v[2:3]
	s_movk_i32 s8, 0x80
	v_add_co_u32_e32 v2, vcc, s2, v2
	v_addc_co_u32_e32 v3, vcc, v5, v3, vcc
	global_load_dword v2, v[2:3], off
	v_mul_u32_u24_e32 v3, 0x90, v4
	v_lshlrev_b32_e32 v5, 2, v1
	v_add3_u32 v3, 0, v3, v5
	v_or_b32_e32 v1, 0x80, v1
	v_mov_b32_e32 v5, s7
	s_waitcnt vmcnt(0)
	ds_write_b32 v3, v2
	v_mul_lo_u16_e32 v2, 57, v1
	v_lshrrev_b16_e32 v2, 11, v2
	v_add_u32_e32 v4, v4, v2
	v_mul_lo_u16_e32 v2, 36, v2
	v_sub_u16_e32 v1, v1, v2
	v_and_b32_e32 v1, 0xff, v1
	v_mad_u64_u32 v[2:3], s[0:1], v4, s20, v[1:2]
	v_ashrrev_i32_e32 v3, 31, v2
	v_lshlrev_b64 v[2:3], 2, v[2:3]
	v_add_co_u32_e32 v2, vcc, s2, v2
	v_addc_co_u32_e32 v3, vcc, v5, v3, vcc
	global_load_dword v2, v[2:3], off
	v_mul_u32_u24_e32 v3, 0x90, v4
	v_lshlrev_b32_e32 v5, 2, v1
	v_add3_u32 v3, 0, v3, v5
	v_or_b32_e32 v1, 0x80, v1
	v_mov_b32_e32 v5, s7
	s_waitcnt vmcnt(0)
	ds_write_b32 v3, v2
	v_mul_lo_u16_e32 v2, 57, v1
	v_lshrrev_b16_e32 v2, 11, v2
	v_add_u32_e32 v4, v4, v2
	v_mul_lo_u16_e32 v2, 36, v2
	v_sub_u16_e32 v1, v1, v2
	v_and_b32_e32 v1, 0xff, v1
	v_mad_u64_u32 v[2:3], s[0:1], v4, s20, v[1:2]
	v_ashrrev_i32_e32 v3, 31, v2
	v_lshlrev_b64 v[2:3], 2, v[2:3]
	;; [unrolled: 19-line block ×6, first 2 shown]
	v_add_co_u32_e32 v2, vcc, s2, v2
	v_addc_co_u32_e32 v3, vcc, v5, v3, vcc
	global_load_dword v2, v[2:3], off
	v_mul_lo_u32 v3, v4, s9
	v_lshlrev_b32_e32 v5, 2, v1
	v_or_b32_e32 v1, 0x80, v1
	v_add3_u32 v3, 0, v3, v5
	v_mov_b32_e32 v5, s7
	s_waitcnt vmcnt(0)
	ds_write_b32 v3, v2
	v_mul_lo_u16_e32 v2, 57, v1
	v_lshrrev_b16_e32 v2, 11, v2
	v_add_u32_e32 v4, v4, v2
	v_mul_lo_u16_e32 v2, 36, v2
	v_sub_u16_e32 v1, v1, v2
	v_and_b32_e32 v1, 0xff, v1
	v_mad_u64_u32 v[2:3], s[0:1], v4, s20, v[1:2]
	v_ashrrev_i32_e32 v3, 31, v2
	v_lshlrev_b64 v[2:3], 2, v[2:3]
	v_add_co_u32_e32 v2, vcc, s2, v2
	v_addc_co_u32_e32 v3, vcc, v5, v3, vcc
	global_load_dword v2, v[2:3], off
	v_mul_lo_u32 v3, v4, s9
	v_lshlrev_b32_e32 v5, 2, v1
	v_or_b32_e32 v1, 0x80, v1
	v_add3_u32 v3, 0, v3, v5
	v_mov_b32_e32 v5, s7
	s_waitcnt vmcnt(0)
	ds_write_b32 v3, v2
	v_mul_lo_u16_e32 v2, 57, v1
	v_lshrrev_b16_e32 v2, 11, v2
	v_add_u32_e32 v4, v4, v2
	v_mul_lo_u16_e32 v2, 36, v2
	v_sub_u16_e32 v1, v1, v2
	v_and_b32_e32 v1, 0xff, v1
	v_mad_u64_u32 v[2:3], s[0:1], v4, s20, v[1:2]
	v_ashrrev_i32_e32 v3, 31, v2
	v_lshlrev_b64 v[2:3], 2, v[2:3]
	;; [unrolled: 19-line block ×13, first 2 shown]
	v_add_co_u32_e32 v2, vcc, s2, v2
	v_addc_co_u32_e32 v3, vcc, v5, v3, vcc
	global_load_dword v2, v[2:3], off
	v_mul_lo_u32 v3, v4, s9
	v_lshlrev_b32_e32 v5, 2, v1
	v_or_b32_e32 v1, 0x80, v1
	v_add3_u32 v3, 0, v3, v5
	s_waitcnt vmcnt(0)
	ds_write_b32 v3, v2
	v_mul_lo_u16_e32 v2, 57, v1
	v_lshrrev_b16_e32 v3, 11, v2
	v_add_u32_e32 v2, v4, v3
	v_mul_lo_u16_e32 v3, 36, v3
	v_sub_u16_e32 v1, v1, v3
	v_and_b32_e32 v1, 0xff, v1
	v_cmp_gt_u32_e32 vcc, s8, v2
	s_and_saveexec_b64 s[0:1], vcc
	s_cbranch_execz .LBB5_2
; %bb.1:
	v_mad_u64_u32 v[3:4], s[10:11], v2, s20, v[1:2]
	v_mov_b32_e32 v5, s7
	v_ashrrev_i32_e32 v4, 31, v3
	v_lshlrev_b64 v[3:4], 2, v[3:4]
	v_add_co_u32_e32 v3, vcc, s2, v3
	v_addc_co_u32_e32 v4, vcc, v5, v4, vcc
	global_load_dword v3, v[3:4], off
	v_mul_lo_u32 v4, v2, s9
	v_lshlrev_b32_e32 v5, 2, v1
	v_add3_u32 v4, 0, v4, v5
	s_waitcnt vmcnt(0)
	ds_write_b32 v4, v3
.LBB5_2:
	s_or_b64 exec, exec, s[0:1]
	v_or_b32_e32 v1, 0x80, v1
	v_mul_lo_u16_e32 v3, 57, v1
	v_lshrrev_b16_e32 v3, 11, v3
	v_add_u32_e32 v2, v2, v3
	v_mul_lo_u16_e32 v3, 36, v3
	v_sub_u16_e32 v1, v1, v3
	v_and_b32_e32 v1, 0xff, v1
	v_cmp_gt_u32_e32 vcc, s8, v2
	s_and_saveexec_b64 s[0:1], vcc
	s_cbranch_execz .LBB5_4
; %bb.3:
	v_mad_u64_u32 v[3:4], s[8:9], v2, s20, v[1:2]
	v_mov_b32_e32 v5, s7
	s_movk_i32 s8, 0x90
	v_ashrrev_i32_e32 v4, 31, v3
	v_lshlrev_b64 v[3:4], 2, v[3:4]
	v_add_co_u32_e32 v3, vcc, s2, v3
	v_addc_co_u32_e32 v4, vcc, v5, v4, vcc
	global_load_dword v3, v[3:4], off
	v_mul_lo_u32 v4, v2, s8
	v_lshlrev_b32_e32 v5, 2, v1
	v_add3_u32 v4, 0, v4, v5
	s_waitcnt vmcnt(0)
	ds_write_b32 v4, v3
.LBB5_4:
	s_or_b64 exec, exec, s[0:1]
	v_or_b32_e32 v1, 0x80, v1
	v_mul_lo_u16_e32 v3, 57, v1
	v_lshrrev_b16_e32 v3, 11, v3
	v_add_u32_e32 v2, v2, v3
	v_mul_lo_u16_e32 v3, 36, v3
	s_movk_i32 s8, 0x80
	v_sub_u16_e32 v1, v1, v3
	v_and_b32_e32 v1, 0xff, v1
	v_cmp_gt_u32_e32 vcc, s8, v2
	s_and_saveexec_b64 s[0:1], vcc
	s_cbranch_execz .LBB5_6
; %bb.5:
	v_mad_u64_u32 v[3:4], s[10:11], v2, s20, v[1:2]
	v_mov_b32_e32 v5, s7
	s_movk_i32 s9, 0x90
	v_ashrrev_i32_e32 v4, 31, v3
	v_lshlrev_b64 v[3:4], 2, v[3:4]
	v_add_co_u32_e32 v3, vcc, s2, v3
	v_addc_co_u32_e32 v4, vcc, v5, v4, vcc
	global_load_dword v3, v[3:4], off
	v_mul_lo_u32 v4, v2, s9
	v_lshlrev_b32_e32 v5, 2, v1
	v_add3_u32 v4, 0, v4, v5
	s_waitcnt vmcnt(0)
	ds_write_b32 v4, v3
.LBB5_6:
	s_or_b64 exec, exec, s[0:1]
	v_or_b32_e32 v1, 0x80, v1
	v_mul_lo_u16_e32 v3, 57, v1
	v_lshrrev_b16_e32 v3, 11, v3
	v_add_u32_e32 v2, v2, v3
	v_mul_lo_u16_e32 v3, 36, v3
	v_sub_u16_e32 v1, v1, v3
	v_and_b32_e32 v1, 0xff, v1
	v_cmp_gt_u32_e32 vcc, s8, v2
	s_and_saveexec_b64 s[0:1], vcc
	s_cbranch_execz .LBB5_8
; %bb.7:
	v_mad_u64_u32 v[3:4], s[8:9], v2, s20, v[1:2]
	v_mov_b32_e32 v5, s7
	s_movk_i32 s8, 0x90
	v_ashrrev_i32_e32 v4, 31, v3
	v_lshlrev_b64 v[3:4], 2, v[3:4]
	v_add_co_u32_e32 v3, vcc, s2, v3
	v_addc_co_u32_e32 v4, vcc, v5, v4, vcc
	global_load_dword v3, v[3:4], off
	v_mul_lo_u32 v4, v2, s8
	v_lshlrev_b32_e32 v5, 2, v1
	v_add3_u32 v4, 0, v4, v5
	s_waitcnt vmcnt(0)
	ds_write_b32 v4, v3
.LBB5_8:
	s_or_b64 exec, exec, s[0:1]
	v_or_b32_e32 v1, 0x80, v1
	v_mul_lo_u16_e32 v3, 57, v1
	v_lshrrev_b16_e32 v3, 11, v3
	v_add_u32_e32 v2, v2, v3
	v_mul_lo_u16_e32 v3, 36, v3
	s_movk_i32 s8, 0x80
	v_sub_u16_e32 v1, v1, v3
	v_and_b32_e32 v1, 0xff, v1
	v_cmp_gt_u32_e32 vcc, s8, v2
	s_and_saveexec_b64 s[0:1], vcc
	s_cbranch_execz .LBB5_10
; %bb.9:
	v_mad_u64_u32 v[3:4], s[10:11], v2, s20, v[1:2]
	v_mov_b32_e32 v5, s7
	s_movk_i32 s9, 0x90
	v_ashrrev_i32_e32 v4, 31, v3
	v_lshlrev_b64 v[3:4], 2, v[3:4]
	v_add_co_u32_e32 v3, vcc, s2, v3
	v_addc_co_u32_e32 v4, vcc, v5, v4, vcc
	global_load_dword v3, v[3:4], off
	v_mul_lo_u32 v4, v2, s9
	v_lshlrev_b32_e32 v5, 2, v1
	v_add3_u32 v4, 0, v4, v5
	s_waitcnt vmcnt(0)
	ds_write_b32 v4, v3
.LBB5_10:
	;; [unrolled: 53-line block ×4, first 2 shown]
	s_or_b64 exec, exec, s[0:1]
	s_load_dwordx4 s[8:11], s[4:5], 0x8
	s_load_dwordx2 s[0:1], s[4:5], 0x28
	s_movk_i32 s16, 0x380
	v_cmp_gt_u32_e32 vcc, s16, v0
	s_and_saveexec_b64 s[16:17], vcc
	s_cbranch_execz .LBB5_39
; %bb.19:
	v_or_b32_e32 v1, 0x80, v1
	v_mul_lo_u16_e32 v3, 57, v1
	v_lshrrev_b16_e32 v3, 11, v3
	v_add_u32_e32 v2, v2, v3
	v_mul_lo_u16_e32 v3, 36, v3
	s_movk_i32 s18, 0x80
	v_sub_u16_e32 v1, v1, v3
	v_and_b32_e32 v1, 0xff, v1
	v_cmp_gt_u32_e32 vcc, s18, v2
	s_and_saveexec_b64 s[18:19], vcc
	s_cbranch_execz .LBB5_21
; %bb.20:
	v_mad_u64_u32 v[3:4], s[22:23], v2, s20, v[1:2]
	v_mov_b32_e32 v5, s7
	s_movk_i32 s21, 0x90
	v_ashrrev_i32_e32 v4, 31, v3
	v_lshlrev_b64 v[3:4], 2, v[3:4]
	v_add_co_u32_e32 v3, vcc, s2, v3
	v_addc_co_u32_e32 v4, vcc, v5, v4, vcc
	global_load_dword v3, v[3:4], off
	v_mul_lo_u32 v4, v2, s21
	v_lshlrev_b32_e32 v5, 2, v1
	v_add3_u32 v4, 0, v4, v5
	s_waitcnt vmcnt(0)
	ds_write_b32 v4, v3
.LBB5_21:
	s_or_b64 exec, exec, s[18:19]
	s_movk_i32 s18, 0x300
	v_cmp_gt_u32_e32 vcc, s18, v0
	s_and_b64 exec, exec, vcc
	s_cbranch_execz .LBB5_39
; %bb.22:
	v_or_b32_e32 v1, 0x80, v1
	v_mul_lo_u16_e32 v3, 57, v1
	v_lshrrev_b16_e32 v3, 11, v3
	v_add_u32_e32 v2, v2, v3
	v_mul_lo_u16_e32 v3, 36, v3
	s_movk_i32 s18, 0x80
	v_sub_u16_e32 v1, v1, v3
	v_and_b32_e32 v1, 0xff, v1
	v_cmp_gt_u32_e32 vcc, s18, v2
	s_and_saveexec_b64 s[18:19], vcc
	s_cbranch_execz .LBB5_24
; %bb.23:
	v_mad_u64_u32 v[3:4], s[22:23], v2, s20, v[1:2]
	v_mov_b32_e32 v5, s7
	s_movk_i32 s21, 0x90
	v_ashrrev_i32_e32 v4, 31, v3
	v_lshlrev_b64 v[3:4], 2, v[3:4]
	v_add_co_u32_e32 v3, vcc, s2, v3
	v_addc_co_u32_e32 v4, vcc, v5, v4, vcc
	global_load_dword v3, v[3:4], off
	v_mul_lo_u32 v4, v2, s21
	v_lshlrev_b32_e32 v5, 2, v1
	v_add3_u32 v4, 0, v4, v5
	s_waitcnt vmcnt(0)
	ds_write_b32 v4, v3
.LBB5_24:
	s_or_b64 exec, exec, s[18:19]
	s_movk_i32 s18, 0x280
	v_cmp_gt_u32_e32 vcc, s18, v0
	s_and_b64 exec, exec, vcc
	;; [unrolled: 32-line block ×5, first 2 shown]
	s_cbranch_execz .LBB5_39
; %bb.34:
	v_or_b32_e32 v1, 0x80, v1
	v_mul_lo_u16_e32 v3, 57, v1
	v_lshrrev_b16_e32 v3, 11, v3
	v_add_u32_e32 v2, v2, v3
	v_mul_lo_u16_e32 v3, 36, v3
	s_movk_i32 s21, 0x80
	v_sub_u16_e32 v1, v1, v3
	v_and_b32_e32 v1, 0xff, v1
	v_cmp_gt_u32_e32 vcc, s21, v2
	s_and_saveexec_b64 s[18:19], vcc
	s_cbranch_execz .LBB5_36
; %bb.35:
	v_mad_u64_u32 v[3:4], s[22:23], v2, s20, v[1:2]
	v_mov_b32_e32 v5, s7
	s_movk_i32 s22, 0x90
	v_ashrrev_i32_e32 v4, 31, v3
	v_lshlrev_b64 v[3:4], 2, v[3:4]
	v_add_co_u32_e32 v3, vcc, s2, v3
	v_addc_co_u32_e32 v4, vcc, v5, v4, vcc
	global_load_dword v3, v[3:4], off
	v_mul_lo_u32 v4, v2, s22
	v_lshlrev_b32_e32 v5, 2, v1
	v_add3_u32 v4, 0, v4, v5
	s_waitcnt vmcnt(0)
	ds_write_b32 v4, v3
.LBB5_36:
	s_or_b64 exec, exec, s[18:19]
	v_cmp_gt_u32_e32 vcc, s21, v0
	s_and_b64 exec, exec, vcc
	s_cbranch_execz .LBB5_39
; %bb.37:
	v_or_b32_e32 v3, 0x80, v1
	v_mul_lo_u16_e32 v1, 57, v3
	v_lshrrev_b16_e32 v4, 11, v1
	s_movk_i32 s18, 0x80
	v_add_u32_e32 v1, v2, v4
	v_cmp_gt_u32_e32 vcc, s18, v1
	s_and_b64 exec, exec, vcc
	s_cbranch_execz .LBB5_39
; %bb.38:
	v_mul_lo_u16_e32 v2, 36, v4
	v_sub_u16_e32 v2, v3, v2
	v_and_b32_e32 v2, 0xff, v2
	v_mad_u64_u32 v[3:4], s[18:19], v1, s20, v[2:3]
	v_mov_b32_e32 v5, s7
	v_lshlrev_b32_e32 v2, 2, v2
	v_ashrrev_i32_e32 v4, 31, v3
	v_lshlrev_b64 v[3:4], 2, v[3:4]
	v_add_co_u32_e32 v3, vcc, s2, v3
	v_addc_co_u32_e32 v4, vcc, v5, v4, vcc
	global_load_dword v3, v[3:4], off
	s_movk_i32 s2, 0x90
	v_mul_lo_u32 v1, v1, s2
	v_add3_u32 v1, 0, v1, v2
	s_waitcnt vmcnt(0)
	ds_write_b32 v1, v3
.LBB5_39:
	s_or_b64 exec, exec, s[16:17]
	s_ashr_i32 s2, s3, 31
	s_mul_hi_u32 s7, s12, s3
	s_mul_i32 s2, s12, s2
	s_add_i32 s2, s7, s2
	s_mul_i32 s7, s13, s3
	s_add_i32 s2, s2, s7
	s_mul_i32 s7, s12, s3
	s_waitcnt lgkmcnt(0)
	s_add_u32 s7, s8, s7
	s_addc_u32 s2, s9, s2
	s_ashr_i32 s3, s3, 2
	v_mul_lo_u32 v1, s3, v0
	v_mov_b32_e32 v3, s2
	s_barrier
	v_ashrrev_i32_e32 v2, 31, v1
	v_lshlrev_b64 v[1:2], 2, v[1:2]
	v_add_co_u32_e32 v5, vcc, s7, v1
	v_addc_co_u32_e32 v6, vcc, v3, v2, vcc
	global_load_dword v9, v[5:6], off offset:16
	global_load_dwordx4 v[1:4], v[5:6], off
	s_cmp_eq_u64 s[10:11], 0
	v_lshlrev_b32_e32 v5, 2, v0
	s_cbranch_scc1 .LBB5_41
; %bb.40:
	s_lshl_b64 s[2:3], s[12:13], 2
	s_add_u32 s2, s10, s2
	s_addc_u32 s3, s11, s3
	global_load_dword v10, v5, s[2:3]
	s_branch .LBB5_42
.LBB5_41:
	v_mov_b32_e32 v10, 0
.LBB5_42:
	s_load_dwordx2 s[2:3], s[4:5], 0x40
	s_waitcnt lgkmcnt(0)
	s_sub_u32 s2, s2, s14
	s_subb_u32 s3, s3, s15
	v_cmp_lt_i64_e64 s[8:9], s[2:3], 1
	s_and_b64 vcc, exec, s[8:9]
	s_cbranch_vccnz .LBB5_45
; %bb.43:
	s_load_dwordx4 s[8:11], s[4:5], 0x30
	v_mov_b32_e32 v11, 0x7f800000
	s_waitcnt lgkmcnt(0)
	s_mul_i32 s4, s10, s6
	s_ashr_i32 s10, s4, 31
	s_add_u32 s0, s0, s4
	s_addc_u32 s1, s1, s10
	s_ashr_i32 s4, s9, 31
	s_mul_hi_u32 s5, s14, s9
	s_mul_i32 s4, s14, s4
	s_mul_i32 s6, s15, s9
	s_add_i32 s4, s5, s4
	s_mul_i32 s7, s14, s9
	s_add_i32 s4, s4, s6
	s_add_u32 s0, s0, s7
	s_addc_u32 s1, s1, s4
	s_ashr_i32 s4, s8, 31
	s_mul_hi_u32 s5, s12, s8
	s_mul_i32 s4, s12, s4
	s_add_i32 s4, s5, s4
	s_mul_i32 s5, s13, s8
	s_add_i32 s4, s4, s5
	s_mul_i32 s5, s12, s8
	s_add_u32 s6, s0, s5
	s_addc_u32 s0, s1, s4
	s_movk_i32 s1, 0x90
	v_mad_u32_u24 v0, v0, s1, 0
	s_ashr_i32 s4, s9, 2
	v_mov_b32_e32 v6, s0
	v_cmp_lt_u64_e64 s[0:1], s[2:3], 32
	ds_read_b32 v7, v0
	s_ashr_i32 s5, s4, 31
	s_and_b64 s[0:1], s[0:1], exec
	v_add_co_u32_e32 v5, vcc, s6, v5
	s_cselect_b32 s1, s3, 0
	s_cselect_b32 s0, s2, 32
	s_lshl_b64 s[2:3], s[4:5], 2
	v_addc_co_u32_e32 v6, vcc, 0, v6, vcc
	s_mov_b32 s4, 0xbfb8aa3b
	s_mov_b32 s5, 0x42ce8ed0
	;; [unrolled: 1-line block ×3, first 2 shown]
	v_mov_b32_e32 v12, s3
	s_waitcnt vmcnt(0)
.LBB5_44:                               ; =>This Inner Loop Header: Depth=1
	s_waitcnt lgkmcnt(0)
	v_fma_f32 v15, v1, v7, 0
	ds_read2_b32 v[7:8], v0 offset0:1 offset1:2
	ds_read2_b32 v[13:14], v0 offset0:3 offset1:4
	s_add_u32 s0, s0, -1
	s_addc_u32 s1, s1, -1
	v_add_u32_e32 v0, 4, v0
	s_waitcnt lgkmcnt(1)
	v_fmac_f32_e32 v15, v2, v7
	v_fmac_f32_e32 v15, v3, v8
	s_waitcnt lgkmcnt(0)
	v_fmac_f32_e32 v15, v4, v13
	v_fmac_f32_e32 v15, v9, v14
	v_add_f32_e32 v8, v10, v15
	v_mul_f32_e32 v13, 0xbfb8aa3b, v8
	v_fma_f32 v14, v8, s4, -v13
	v_rndne_f32_e32 v15, v13
	v_fmac_f32_e32 v14, 0xb2a5705f, v8
	v_sub_f32_e32 v13, v13, v15
	v_add_f32_e32 v13, v13, v14
	v_cvt_i32_f32_e32 v15, v15
	v_exp_f32_e32 v13, v13
	v_cmp_nlt_f32_e32 vcc, s5, v8
	s_cmp_lg_u64 s[0:1], 0
	v_ldexp_f32 v13, v13, v15
	v_cndmask_b32_e32 v13, 0, v13, vcc
	v_cmp_ngt_f32_e32 vcc, s6, v8
	v_cndmask_b32_e32 v13, v11, v13, vcc
	v_add_f32_e32 v13, 1.0, v13
	v_div_scale_f32 v14, s[8:9], v13, v13, v8
	v_div_scale_f32 v15, vcc, v8, v13, v8
	v_rcp_f32_e32 v16, v14
	v_fma_f32 v17, -v14, v16, 1.0
	v_fmac_f32_e32 v16, v17, v16
	v_mul_f32_e32 v17, v15, v16
	v_fma_f32 v18, -v14, v17, v15
	v_fmac_f32_e32 v17, v18, v16
	v_fma_f32 v14, -v14, v17, v15
	v_div_fmas_f32 v14, v14, v16, v17
	v_div_fixup_f32 v8, v14, v13, v8
	global_store_dword v[5:6], v8, off
	v_add_co_u32_e32 v5, vcc, s2, v5
	v_addc_co_u32_e32 v6, vcc, v6, v12, vcc
	s_cbranch_scc1 .LBB5_44
.LBB5_45:
	s_endpgm
	.section	.rodata,"a",@progbits
	.p2align	6, 0x0
	.amdhsa_kernel _ZL23ssm_conv_long_token_f32ILb1ELm128ELm5ELl32EEvPKfS1_S1_iiiiPfiiil
		.amdhsa_group_segment_fixed_size 0
		.amdhsa_private_segment_fixed_size 0
		.amdhsa_kernarg_size 72
		.amdhsa_user_sgpr_count 6
		.amdhsa_user_sgpr_private_segment_buffer 1
		.amdhsa_user_sgpr_dispatch_ptr 0
		.amdhsa_user_sgpr_queue_ptr 0
		.amdhsa_user_sgpr_kernarg_segment_ptr 1
		.amdhsa_user_sgpr_dispatch_id 0
		.amdhsa_user_sgpr_flat_scratch_init 0
		.amdhsa_user_sgpr_private_segment_size 0
		.amdhsa_uses_dynamic_stack 0
		.amdhsa_system_sgpr_private_segment_wavefront_offset 0
		.amdhsa_system_sgpr_workgroup_id_x 1
		.amdhsa_system_sgpr_workgroup_id_y 1
		.amdhsa_system_sgpr_workgroup_id_z 1
		.amdhsa_system_sgpr_workgroup_info 0
		.amdhsa_system_vgpr_workitem_id 0
		.amdhsa_next_free_vgpr 19
		.amdhsa_next_free_sgpr 24
		.amdhsa_reserve_vcc 1
		.amdhsa_reserve_flat_scratch 0
		.amdhsa_float_round_mode_32 0
		.amdhsa_float_round_mode_16_64 0
		.amdhsa_float_denorm_mode_32 3
		.amdhsa_float_denorm_mode_16_64 3
		.amdhsa_dx10_clamp 1
		.amdhsa_ieee_mode 1
		.amdhsa_fp16_overflow 0
		.amdhsa_exception_fp_ieee_invalid_op 0
		.amdhsa_exception_fp_denorm_src 0
		.amdhsa_exception_fp_ieee_div_zero 0
		.amdhsa_exception_fp_ieee_overflow 0
		.amdhsa_exception_fp_ieee_underflow 0
		.amdhsa_exception_fp_ieee_inexact 0
		.amdhsa_exception_int_div_zero 0
	.end_amdhsa_kernel
	.section	.text._ZL23ssm_conv_long_token_f32ILb1ELm128ELm5ELl32EEvPKfS1_S1_iiiiPfiiil,"axG",@progbits,_ZL23ssm_conv_long_token_f32ILb1ELm128ELm5ELl32EEvPKfS1_S1_iiiiPfiiil,comdat
.Lfunc_end5:
	.size	_ZL23ssm_conv_long_token_f32ILb1ELm128ELm5ELl32EEvPKfS1_S1_iiiiPfiiil, .Lfunc_end5-_ZL23ssm_conv_long_token_f32ILb1ELm128ELm5ELl32EEvPKfS1_S1_iiiiPfiiil
                                        ; -- End function
	.set _ZL23ssm_conv_long_token_f32ILb1ELm128ELm5ELl32EEvPKfS1_S1_iiiiPfiiil.num_vgpr, 19
	.set _ZL23ssm_conv_long_token_f32ILb1ELm128ELm5ELl32EEvPKfS1_S1_iiiiPfiiil.num_agpr, 0
	.set _ZL23ssm_conv_long_token_f32ILb1ELm128ELm5ELl32EEvPKfS1_S1_iiiiPfiiil.numbered_sgpr, 24
	.set _ZL23ssm_conv_long_token_f32ILb1ELm128ELm5ELl32EEvPKfS1_S1_iiiiPfiiil.num_named_barrier, 0
	.set _ZL23ssm_conv_long_token_f32ILb1ELm128ELm5ELl32EEvPKfS1_S1_iiiiPfiiil.private_seg_size, 0
	.set _ZL23ssm_conv_long_token_f32ILb1ELm128ELm5ELl32EEvPKfS1_S1_iiiiPfiiil.uses_vcc, 1
	.set _ZL23ssm_conv_long_token_f32ILb1ELm128ELm5ELl32EEvPKfS1_S1_iiiiPfiiil.uses_flat_scratch, 0
	.set _ZL23ssm_conv_long_token_f32ILb1ELm128ELm5ELl32EEvPKfS1_S1_iiiiPfiiil.has_dyn_sized_stack, 0
	.set _ZL23ssm_conv_long_token_f32ILb1ELm128ELm5ELl32EEvPKfS1_S1_iiiiPfiiil.has_recursion, 0
	.set _ZL23ssm_conv_long_token_f32ILb1ELm128ELm5ELl32EEvPKfS1_S1_iiiiPfiiil.has_indirect_call, 0
	.section	.AMDGPU.csdata,"",@progbits
; Kernel info:
; codeLenInByte = 5120
; TotalNumSgprs: 28
; NumVgprs: 19
; ScratchSize: 0
; MemoryBound: 0
; FloatMode: 240
; IeeeMode: 1
; LDSByteSize: 0 bytes/workgroup (compile time only)
; SGPRBlocks: 3
; VGPRBlocks: 4
; NumSGPRsForWavesPerEU: 28
; NumVGPRsForWavesPerEU: 19
; Occupancy: 10
; WaveLimiterHint : 0
; COMPUTE_PGM_RSRC2:SCRATCH_EN: 0
; COMPUTE_PGM_RSRC2:USER_SGPR: 6
; COMPUTE_PGM_RSRC2:TRAP_HANDLER: 0
; COMPUTE_PGM_RSRC2:TGID_X_EN: 1
; COMPUTE_PGM_RSRC2:TGID_Y_EN: 1
; COMPUTE_PGM_RSRC2:TGID_Z_EN: 1
; COMPUTE_PGM_RSRC2:TIDIG_COMP_CNT: 0
	.section	.text._ZL12ssm_conv_f32ILb1ELm128ELm9EEvPKfS1_S1_iiiiPfiiil,"axG",@progbits,_ZL12ssm_conv_f32ILb1ELm128ELm9EEvPKfS1_S1_iiiiPfiiil,comdat
	.globl	_ZL12ssm_conv_f32ILb1ELm128ELm9EEvPKfS1_S1_iiiiPfiiil ; -- Begin function _ZL12ssm_conv_f32ILb1ELm128ELm9EEvPKfS1_S1_iiiiPfiiil
	.p2align	8
	.type	_ZL12ssm_conv_f32ILb1ELm128ELm9EEvPKfS1_S1_iiiiPfiiil,@function
_ZL12ssm_conv_f32ILb1ELm128ELm9EEvPKfS1_S1_iiiiPfiiil: ; @_ZL12ssm_conv_f32ILb1ELm128ELm9EEvPKfS1_S1_iiiiPfiiil
; %bb.0:
	s_load_dwordx4 s[12:15], s[4:5], 0x1c
	s_load_dwordx4 s[0:3], s[4:5], 0x0
	s_load_dwordx2 s[8:9], s[4:5], 0x10
	s_mov_b32 s10, s7
	s_ashr_i32 s11, s7, 31
	s_lshl_b64 s[16:17], s[10:11], 7
	s_waitcnt lgkmcnt(0)
	s_ashr_i32 s7, s14, 31
	s_mul_i32 s7, s16, s7
	s_mul_hi_u32 s15, s16, s14
	s_lshr_b64 s[10:11], s[10:11], 25
	s_add_i32 s7, s15, s7
	s_mul_i32 s10, s10, s14
	s_add_i32 s7, s7, s10
	s_mul_i32 s10, s16, s14
	s_add_u32 s20, s2, s10
	s_addc_u32 s7, s3, s7
	s_cmp_eq_u64 s[8:9], 0
	v_lshlrev_b32_e32 v19, 2, v0
	s_cbranch_scc1 .LBB6_2
; %bb.1:
	s_lshl_b64 s[2:3], s[16:17], 2
	s_add_u32 s2, s8, s2
	s_addc_u32 s3, s9, s3
	global_load_dword v21, v19, s[2:3]
	s_load_dwordx2 s[2:3], s[4:5], 0x40
	s_waitcnt lgkmcnt(0)
	v_cmp_lt_i64_e64 s[8:9], s[2:3], 1
	s_and_b64 vcc, exec, s[8:9]
	s_cbranch_vccz .LBB6_3
	s_branch .LBB6_6
.LBB6_2:
	v_mov_b32_e32 v21, 0
	s_load_dwordx2 s[2:3], s[4:5], 0x40
	s_waitcnt lgkmcnt(0)
	v_cmp_lt_i64_e64 s[8:9], s[2:3], 1
	s_and_b64 vcc, exec, s[8:9]
	s_cbranch_vccnz .LBB6_6
.LBB6_3:
	s_ashr_i32 s8, s14, 2
	v_mul_lo_u32 v1, s8, v0
	s_load_dwordx2 s[14:15], s[4:5], 0x28
	s_load_dwordx4 s[8:11], s[4:5], 0x30
	s_ashr_i32 s4, s12, 31
	s_mul_hi_u32 s5, s16, s12
	s_mul_i32 s4, s16, s4
	s_waitcnt lgkmcnt(0)
	s_mul_i32 s11, s13, s6
	s_add_i32 s4, s5, s4
	s_mul_i32 s5, s17, s12
	s_mul_i32 s6, s10, s6
	v_mov_b32_e32 v3, s7
	s_ashr_i32 s13, s11, 31
	s_add_i32 s18, s4, s5
	s_ashr_i32 s7, s6, 31
	s_add_u32 s4, s14, s6
	s_addc_u32 s5, s15, s7
	s_ashr_i32 s10, s8, 31
	s_mul_hi_u32 s21, s16, s8
	s_mul_i32 s10, s16, s10
	s_add_i32 s10, s21, s10
	s_mul_i32 s17, s17, s8
	s_add_i32 s10, s10, s17
	s_mul_i32 s8, s16, s8
	s_add_u32 s4, s4, s8
	s_addc_u32 s5, s5, s10
	s_mul_i32 s19, s16, s12
	s_add_u32 s16, s0, s11
	s_addc_u32 s17, s1, s13
	s_add_u32 s16, s16, s19
	s_addc_u32 s17, s17, s18
	s_ashr_i32 s12, s12, 2
	v_mul_lo_u32 v0, s12, v0
	v_ashrrev_i32_e32 v2, 31, v1
	v_lshlrev_b64 v[1:2], 2, v[1:2]
	s_mov_b32 s24, 0xbfb8aa3b
	v_add_co_u32_e32 v23, vcc, s20, v1
	v_ashrrev_i32_e32 v1, 31, v0
	v_lshlrev_b64 v[17:18], 2, v[0:1]
	v_addc_co_u32_e32 v24, vcc, v3, v2, vcc
	v_mov_b32_e32 v0, s17
	v_add_co_u32_e32 v25, vcc, s16, v17
	v_addc_co_u32_e32 v26, vcc, v0, v18, vcc
	global_load_dwordx4 v[9:12], v[23:24], off
	global_load_dwordx4 v[0:3], v[25:26], off
	global_load_dwordx4 v[4:7], v[25:26], off offset:16
	global_load_dwordx4 v[13:16], v[23:24], off offset:16
	global_load_dword v22, v[23:24], off offset:32
	global_load_dword v8, v[25:26], off offset:32
	s_mov_b32 s25, 0x42ce8ed0
	s_mov_b32 s26, 0xc2b17218
	s_cmp_eq_u64 s[2:3], 1
	s_waitcnt vmcnt(4)
	v_fma_f32 v20, v0, v9, 0
	v_fmac_f32_e32 v20, v1, v10
	v_fmac_f32_e32 v20, v2, v11
	;; [unrolled: 1-line block ×3, first 2 shown]
	s_waitcnt vmcnt(2)
	v_fmac_f32_e32 v20, v4, v13
	v_fmac_f32_e32 v20, v5, v14
	;; [unrolled: 1-line block ×4, first 2 shown]
	s_waitcnt vmcnt(0)
	v_fmac_f32_e32 v20, v8, v22
	v_add_f32_e32 v20, v21, v20
	v_mul_f32_e32 v23, 0xbfb8aa3b, v20
	v_fma_f32 v24, v20, s24, -v23
	v_rndne_f32_e32 v25, v23
	v_fmac_f32_e32 v24, 0xb2a5705f, v20
	v_sub_f32_e32 v23, v23, v25
	v_add_f32_e32 v23, v23, v24
	v_cvt_i32_f32_e32 v25, v25
	v_exp_f32_e32 v24, v23
	v_cmp_nlt_f32_e32 vcc, s25, v20
	v_mov_b32_e32 v23, 0x7f800000
	v_ldexp_f32 v24, v24, v25
	v_cndmask_b32_e32 v24, 0, v24, vcc
	v_cmp_ngt_f32_e32 vcc, s26, v20
	v_cndmask_b32_e32 v24, v23, v24, vcc
	v_add_f32_e32 v24, 1.0, v24
	v_div_scale_f32 v25, s[16:17], v24, v24, v20
	v_rcp_f32_e32 v26, v25
	v_fma_f32 v27, -v25, v26, 1.0
	v_fmac_f32_e32 v26, v27, v26
	v_div_scale_f32 v27, vcc, v20, v24, v20
	v_mul_f32_e32 v28, v27, v26
	v_fma_f32 v29, -v25, v28, v27
	v_fmac_f32_e32 v28, v29, v26
	v_fma_f32 v25, -v25, v28, v27
	v_div_fmas_f32 v25, v25, v26, v28
	v_div_fixup_f32 v20, v25, v24, v20
	global_store_dword v19, v20, s[4:5]
	s_cbranch_scc1 .LBB6_6
; %bb.4:
	s_ashr_i32 s4, s9, 2
	s_ashr_i32 s5, s4, 31
	s_add_u32 s2, s2, -1
	s_addc_u32 s3, s3, -1
	s_add_u32 s0, s0, s11
	s_addc_u32 s1, s1, s13
	s_add_u32 s0, s0, s19
	s_addc_u32 s1, s1, s18
	v_mov_b32_e32 v20, s1
	v_add_co_u32_e32 v17, vcc, s0, v17
	s_lshl_b64 s[0:1], s[4:5], 2
	s_add_u32 s4, s8, s0
	s_addc_u32 s5, s10, s1
	s_add_u32 s6, s14, s6
	v_addc_co_u32_e32 v18, vcc, v20, v18, vcc
	s_addc_u32 s7, s15, s7
	v_add_co_u32_e32 v17, vcc, 36, v17
	s_add_u32 s4, s6, s4
	v_addc_co_u32_e32 v18, vcc, 0, v18, vcc
	s_addc_u32 s5, s7, s5
	v_mov_b32_e32 v20, s5
	v_add_co_u32_e32 v19, vcc, s4, v19
	v_addc_co_u32_e32 v20, vcc, 0, v20, vcc
	s_mov_b64 s[4:5], 1
	s_mov_b64 s[6:7], 0
	s_mov_b64 s[8:9], 9
	s_mov_b64 s[10:11], 8
	s_mov_b64 s[12:13], 7
	s_mov_b64 s[14:15], 6
	s_mov_b64 s[16:17], 5
	s_mov_b64 s[18:19], 4
	s_mov_b64 s[20:21], 3
	s_mov_b64 s[22:23], 2
.LBB6_5:                                ; =>This Inner Loop Header: Depth=1
	s_mul_i32 s30, s5, 0x8e38e38f
	s_mul_hi_u32 s31, s4, 0x8e38e38f
	s_mul_hi_u32 s29, s5, 0x8e38e38f
	s_add_u32 s30, s30, s31
	s_mul_i32 s28, s4, 0xe38e38e3
	s_addc_u32 s29, s29, 0
	s_mul_hi_u32 s27, s4, 0xe38e38e3
	s_add_u32 s28, s28, s30
	s_addc_u32 s27, s27, 0
	s_add_u32 s27, s29, s27
	s_mul_i32 s34, s5, 0xe38e38e3
	s_addc_u32 s29, 0, 0
	s_mul_hi_u32 s33, s5, 0xe38e38e3
	s_add_u32 s28, s34, s27
	s_addc_u32 s29, s33, s29
	s_mul_i32 s38, s9, 0x8e38e38f
	s_mul_hi_u32 s39, s8, 0x8e38e38f
	s_lshr_b64 s[28:29], s[28:29], 3
	s_mul_hi_u32 s37, s9, 0x8e38e38f
	s_add_u32 s29, s38, s39
	s_mul_i32 s36, s8, 0xe38e38e3
	s_addc_u32 s30, s37, 0
	s_mul_hi_u32 s35, s8, 0xe38e38e3
	s_add_u32 s29, s36, s29
	s_addc_u32 s29, s35, 0
	s_add_u32 s29, s30, s29
	s_mul_i32 s41, s9, 0xe38e38e3
	s_addc_u32 s31, 0, 0
	global_load_dword v24, v[17:18], off
	s_mul_hi_u32 s40, s9, 0xe38e38e3
	s_add_u32 s30, s41, s29
	s_addc_u32 s31, s40, s31
	s_mul_i32 s45, s11, 0x8e38e38f
	s_mul_hi_u32 s46, s10, 0x8e38e38f
	s_lshr_b64 s[30:31], s[30:31], 3
	s_mul_hi_u32 s44, s11, 0x8e38e38f
	s_add_u32 s29, s45, s46
	s_mul_i32 s43, s10, 0xe38e38e3
	s_addc_u32 s34, s44, 0
	s_mul_hi_u32 s42, s10, 0xe38e38e3
	s_add_u32 s29, s43, s29
	s_addc_u32 s29, s42, 0
	s_add_u32 s29, s34, s29
	s_mul_i32 s48, s11, 0xe38e38e3
	s_addc_u32 s35, 0, 0
	s_mul_hi_u32 s47, s11, 0xe38e38e3
	s_add_u32 s34, s48, s29
	s_addc_u32 s35, s47, s35
	s_mul_i32 s52, s13, 0x8e38e38f
	s_mul_hi_u32 s53, s12, 0x8e38e38f
	s_lshr_b64 s[34:35], s[34:35], 3
	s_mul_hi_u32 s51, s13, 0x8e38e38f
	s_add_u32 s29, s52, s53
	s_mul_i32 s50, s12, 0xe38e38e3
	s_addc_u32 s45, s51, 0
	s_mul_hi_u32 s49, s12, 0xe38e38e3
	s_add_u32 s29, s50, s29
	s_mul_i32 s48, s28, 9
	s_addc_u32 s28, s49, 0
	s_add_u32 s28, s45, s28
	s_mul_i32 s55, s13, 0xe38e38e3
	s_addc_u32 s29, 0, 0
	s_mul_hi_u32 s54, s13, 0xe38e38e3
	s_add_u32 s28, s55, s28
	s_addc_u32 s29, s54, s29
	s_mul_i32 s59, s15, 0x8e38e38f
	s_mul_hi_u32 s60, s14, 0x8e38e38f
	s_lshr_b64 s[28:29], s[28:29], 3
	s_mul_hi_u32 s58, s15, 0x8e38e38f
	s_mul_i32 s45, s28, 9
	s_add_u32 s28, s59, s60
	s_mul_i32 s57, s14, 0xe38e38e3
	s_addc_u32 s29, s58, 0
	s_mul_hi_u32 s56, s14, 0xe38e38e3
	s_add_u32 s28, s57, s28
	s_addc_u32 s28, s56, 0
	s_add_u32 s28, s29, s28
	s_mul_i32 s62, s15, 0xe38e38e3
	s_addc_u32 s29, 0, 0
	s_mul_hi_u32 s61, s15, 0xe38e38e3
	s_add_u32 s28, s62, s28
	s_addc_u32 s29, s61, s29
	s_mul_i32 s66, s17, 0x8e38e38f
	s_mul_hi_u32 s67, s16, 0x8e38e38f
	s_lshr_b64 s[28:29], s[28:29], 3
	s_mul_hi_u32 s65, s17, 0x8e38e38f
	s_mul_i32 s49, s28, 9
	s_add_u32 s28, s66, s67
	s_mul_i32 s64, s16, 0xe38e38e3
	s_addc_u32 s29, s65, 0
	s_mul_hi_u32 s63, s16, 0xe38e38e3
	s_add_u32 s28, s64, s28
	;; [unrolled: 17-line block ×3, first 2 shown]
	s_addc_u32 s28, s70, 0
	s_add_u32 s28, s29, s28
	s_mul_i32 s76, s19, 0xe38e38e3
	s_addc_u32 s29, 0, 0
	s_mul_hi_u32 s75, s19, 0xe38e38e3
	s_add_u32 s28, s76, s28
	s_addc_u32 s29, s75, s29
	s_mul_i32 s27, s21, 0x8e38e38f
	s_mul_hi_u32 s33, s20, 0x8e38e38f
	s_lshr_b64 s[28:29], s[28:29], 3
	s_mul_hi_u32 s79, s21, 0x8e38e38f
	s_add_u32 s27, s27, s33
	s_mul_i32 s78, s20, 0xe38e38e3
	s_mul_i32 s54, s28, 9
	s_addc_u32 s28, s79, 0
	s_mul_hi_u32 s77, s20, 0xe38e38e3
	s_add_u32 s27, s78, s27
	s_addc_u32 s27, s77, 0
	s_add_u32 s27, s28, s27
	s_mul_i32 s36, s21, 0xe38e38e3
	s_addc_u32 s29, 0, 0
	s_mul_hi_u32 s38, s21, 0xe38e38e3
	s_add_u32 s28, s36, s27
	s_addc_u32 s29, s38, s29
	s_mul_i32 s31, s23, 0x8e38e38f
	s_mul_hi_u32 s41, s22, 0x8e38e38f
	s_lshr_b64 s[28:29], s[28:29], 3
	s_mul_hi_u32 s40, s23, 0x8e38e38f
	s_mul_i32 s27, s28, 9
	s_add_u32 s28, s31, s41
	s_mul_i32 s39, s22, 0xe38e38e3
	s_addc_u32 s29, s40, 0
	s_mul_hi_u32 s37, s22, 0xe38e38e3
	s_add_u32 s28, s39, s28
	s_addc_u32 s28, s37, 0
	s_add_u32 s28, s29, s28
	s_mul_i32 s42, s23, 0xe38e38e3
	s_addc_u32 s29, 0, 0
	s_mul_hi_u32 s43, s23, 0xe38e38e3
	s_add_u32 s28, s42, s28
	s_addc_u32 s29, s43, s29
	s_mul_i32 s47, s7, 0x8e38e38f
	s_mul_hi_u32 s50, s6, 0x8e38e38f
	s_lshr_b64 s[28:29], s[28:29], 3
	s_mul_hi_u32 s46, s7, 0x8e38e38f
	s_mul_i32 s31, s28, 9
	s_add_u32 s28, s47, s50
	s_mul_i32 s35, s6, 0xe38e38e3
	s_addc_u32 s29, s46, 0
	s_mul_hi_u32 s44, s6, 0xe38e38e3
	s_add_u32 s28, s35, s28
	s_addc_u32 s28, s44, 0
	s_add_u32 s28, s29, s28
	s_mul_i32 s52, s7, 0xe38e38e3
	s_addc_u32 s29, 0, 0
	s_mul_hi_u32 s51, s7, 0xe38e38e3
	s_add_u32 s28, s52, s28
	s_addc_u32 s29, s51, s29
	s_lshr_b64 s[28:29], s[28:29], 3
	s_sub_i32 s33, s6, s48
	s_mul_i32 s28, s28, -9
	s_add_i32 s33, s33, 1
	s_add_i32 s28, s6, s28
	s_add_u32 s4, s4, 1
	s_waitcnt vmcnt(0)
	s_set_gpr_idx_on s28, gpr_idx(DST)
	v_mov_b32_e32 v0, v24
	s_set_gpr_idx_off
	s_addc_u32 s5, s5, 0
	s_sub_i32 s28, s6, s31
	s_set_gpr_idx_on s33, gpr_idx(SRC0)
	v_mov_b32_e32 v24, v0
	s_set_gpr_idx_off
	s_sub_i32 s27, s6, s27
	s_add_i32 s28, s28, 2
	s_sub_i32 s29, s6, s54
	v_fma_f32 v24, v24, v9, 0
	s_add_i32 s27, s27, 3
	s_set_gpr_idx_on s28, gpr_idx(SRC0)
	v_mov_b32_e32 v25, v0
	s_set_gpr_idx_off
	s_sub_i32 s31, s6, s53
	s_add_i32 s29, s29, 4
	v_fmac_f32_e32 v24, v25, v10
	s_set_gpr_idx_on s27, gpr_idx(SRC0)
	v_mov_b32_e32 v25, v0
	s_set_gpr_idx_off
	s_sub_i32 s33, s6, s49
	s_add_i32 s31, s31, 5
	v_fmac_f32_e32 v24, v25, v11
	s_set_gpr_idx_on s29, gpr_idx(SRC0)
	v_mov_b32_e32 v25, v0
	s_set_gpr_idx_off
	s_mul_i32 s34, s34, 9
	s_sub_i32 s35, s6, s45
	s_add_i32 s33, s33, 6
	v_fmac_f32_e32 v24, v25, v12
	s_set_gpr_idx_on s31, gpr_idx(SRC0)
	v_mov_b32_e32 v25, v0
	s_set_gpr_idx_off
	s_mul_i32 s30, s30, 9
	s_sub_i32 s34, s6, s34
	s_add_i32 s35, s35, 7
	v_fmac_f32_e32 v24, v25, v13
	s_set_gpr_idx_on s33, gpr_idx(SRC0)
	v_mov_b32_e32 v25, v0
	s_set_gpr_idx_off
	s_sub_i32 s30, s6, s30
	s_add_i32 s34, s34, 8
	v_fmac_f32_e32 v24, v25, v14
	s_set_gpr_idx_on s35, gpr_idx(SRC0)
	v_mov_b32_e32 v25, v0
	s_set_gpr_idx_off
	s_add_i32 s30, s30, 9
	v_fmac_f32_e32 v24, v25, v15
	s_set_gpr_idx_on s34, gpr_idx(SRC0)
	v_mov_b32_e32 v25, v0
	s_set_gpr_idx_off
	v_fmac_f32_e32 v24, v25, v16
	s_set_gpr_idx_on s30, gpr_idx(SRC0)
	v_mov_b32_e32 v25, v0
	s_set_gpr_idx_off
	v_fmac_f32_e32 v24, v25, v22
	v_add_f32_e32 v24, v21, v24
	v_mul_f32_e32 v25, 0xbfb8aa3b, v24
	v_fma_f32 v26, v24, s24, -v25
	v_rndne_f32_e32 v27, v25
	v_fmac_f32_e32 v26, 0xb2a5705f, v24
	v_sub_f32_e32 v25, v25, v27
	v_add_f32_e32 v25, v25, v26
	v_cvt_i32_f32_e32 v27, v27
	v_exp_f32_e32 v25, v25
	v_cmp_nlt_f32_e32 vcc, s25, v24
	s_add_u32 s6, s6, 1
	s_addc_u32 s7, s7, 0
	v_ldexp_f32 v25, v25, v27
	v_cndmask_b32_e32 v25, 0, v25, vcc
	v_cmp_ngt_f32_e32 vcc, s26, v24
	v_cndmask_b32_e32 v25, v23, v25, vcc
	v_add_f32_e32 v25, 1.0, v25
	v_div_scale_f32 v26, s[28:29], v25, v25, v24
	s_add_u32 s8, s8, 1
	s_addc_u32 s9, s9, 0
	s_add_u32 s10, s10, 1
	s_addc_u32 s11, s11, 0
	s_add_u32 s12, s12, 1
	s_addc_u32 s13, s13, 0
	s_add_u32 s14, s14, 1
	s_addc_u32 s15, s15, 0
	s_add_u32 s16, s16, 1
	s_addc_u32 s17, s17, 0
	s_add_u32 s18, s18, 1
	s_addc_u32 s19, s19, 0
	s_add_u32 s20, s20, 1
	s_addc_u32 s21, s21, 0
	v_rcp_f32_e32 v27, v26
	s_add_u32 s22, s22, 1
	s_addc_u32 s23, s23, 0
	s_cmp_eq_u64 s[2:3], s[6:7]
	v_fma_f32 v28, -v26, v27, 1.0
	v_fmac_f32_e32 v27, v28, v27
	v_div_scale_f32 v28, vcc, v24, v25, v24
	v_mul_f32_e32 v29, v28, v27
	v_fma_f32 v30, -v26, v29, v28
	v_fmac_f32_e32 v29, v30, v27
	v_fma_f32 v26, -v26, v29, v28
	v_div_fmas_f32 v26, v26, v27, v29
	v_add_co_u32_e32 v17, vcc, 4, v17
	v_addc_co_u32_e32 v18, vcc, 0, v18, vcc
	v_mov_b32_e32 v27, s1
	v_div_fixup_f32 v24, v26, v25, v24
	global_store_dword v[19:20], v24, off
	v_add_co_u32_e32 v19, vcc, s0, v19
	v_addc_co_u32_e32 v20, vcc, v20, v27, vcc
	s_cbranch_scc0 .LBB6_5
.LBB6_6:
	s_endpgm
	.section	.rodata,"a",@progbits
	.p2align	6, 0x0
	.amdhsa_kernel _ZL12ssm_conv_f32ILb1ELm128ELm9EEvPKfS1_S1_iiiiPfiiil
		.amdhsa_group_segment_fixed_size 0
		.amdhsa_private_segment_fixed_size 0
		.amdhsa_kernarg_size 72
		.amdhsa_user_sgpr_count 6
		.amdhsa_user_sgpr_private_segment_buffer 1
		.amdhsa_user_sgpr_dispatch_ptr 0
		.amdhsa_user_sgpr_queue_ptr 0
		.amdhsa_user_sgpr_kernarg_segment_ptr 1
		.amdhsa_user_sgpr_dispatch_id 0
		.amdhsa_user_sgpr_flat_scratch_init 0
		.amdhsa_user_sgpr_private_segment_size 0
		.amdhsa_uses_dynamic_stack 0
		.amdhsa_system_sgpr_private_segment_wavefront_offset 0
		.amdhsa_system_sgpr_workgroup_id_x 1
		.amdhsa_system_sgpr_workgroup_id_y 1
		.amdhsa_system_sgpr_workgroup_id_z 0
		.amdhsa_system_sgpr_workgroup_info 0
		.amdhsa_system_vgpr_workitem_id 0
		.amdhsa_next_free_vgpr 31
		.amdhsa_next_free_sgpr 80
		.amdhsa_reserve_vcc 1
		.amdhsa_reserve_flat_scratch 0
		.amdhsa_float_round_mode_32 0
		.amdhsa_float_round_mode_16_64 0
		.amdhsa_float_denorm_mode_32 3
		.amdhsa_float_denorm_mode_16_64 3
		.amdhsa_dx10_clamp 1
		.amdhsa_ieee_mode 1
		.amdhsa_fp16_overflow 0
		.amdhsa_exception_fp_ieee_invalid_op 0
		.amdhsa_exception_fp_denorm_src 0
		.amdhsa_exception_fp_ieee_div_zero 0
		.amdhsa_exception_fp_ieee_overflow 0
		.amdhsa_exception_fp_ieee_underflow 0
		.amdhsa_exception_fp_ieee_inexact 0
		.amdhsa_exception_int_div_zero 0
	.end_amdhsa_kernel
	.section	.text._ZL12ssm_conv_f32ILb1ELm128ELm9EEvPKfS1_S1_iiiiPfiiil,"axG",@progbits,_ZL12ssm_conv_f32ILb1ELm128ELm9EEvPKfS1_S1_iiiiPfiiil,comdat
.Lfunc_end6:
	.size	_ZL12ssm_conv_f32ILb1ELm128ELm9EEvPKfS1_S1_iiiiPfiiil, .Lfunc_end6-_ZL12ssm_conv_f32ILb1ELm128ELm9EEvPKfS1_S1_iiiiPfiiil
                                        ; -- End function
	.set _ZL12ssm_conv_f32ILb1ELm128ELm9EEvPKfS1_S1_iiiiPfiiil.num_vgpr, 31
	.set _ZL12ssm_conv_f32ILb1ELm128ELm9EEvPKfS1_S1_iiiiPfiiil.num_agpr, 0
	.set _ZL12ssm_conv_f32ILb1ELm128ELm9EEvPKfS1_S1_iiiiPfiiil.numbered_sgpr, 80
	.set _ZL12ssm_conv_f32ILb1ELm128ELm9EEvPKfS1_S1_iiiiPfiiil.num_named_barrier, 0
	.set _ZL12ssm_conv_f32ILb1ELm128ELm9EEvPKfS1_S1_iiiiPfiiil.private_seg_size, 0
	.set _ZL12ssm_conv_f32ILb1ELm128ELm9EEvPKfS1_S1_iiiiPfiiil.uses_vcc, 1
	.set _ZL12ssm_conv_f32ILb1ELm128ELm9EEvPKfS1_S1_iiiiPfiiil.uses_flat_scratch, 0
	.set _ZL12ssm_conv_f32ILb1ELm128ELm9EEvPKfS1_S1_iiiiPfiiil.has_dyn_sized_stack, 0
	.set _ZL12ssm_conv_f32ILb1ELm128ELm9EEvPKfS1_S1_iiiiPfiiil.has_recursion, 0
	.set _ZL12ssm_conv_f32ILb1ELm128ELm9EEvPKfS1_S1_iiiiPfiiil.has_indirect_call, 0
	.section	.AMDGPU.csdata,"",@progbits
; Kernel info:
; codeLenInByte = 2276
; TotalNumSgprs: 84
; NumVgprs: 31
; ScratchSize: 0
; MemoryBound: 0
; FloatMode: 240
; IeeeMode: 1
; LDSByteSize: 0 bytes/workgroup (compile time only)
; SGPRBlocks: 10
; VGPRBlocks: 7
; NumSGPRsForWavesPerEU: 84
; NumVGPRsForWavesPerEU: 31
; Occupancy: 8
; WaveLimiterHint : 0
; COMPUTE_PGM_RSRC2:SCRATCH_EN: 0
; COMPUTE_PGM_RSRC2:USER_SGPR: 6
; COMPUTE_PGM_RSRC2:TRAP_HANDLER: 0
; COMPUTE_PGM_RSRC2:TGID_X_EN: 1
; COMPUTE_PGM_RSRC2:TGID_Y_EN: 1
; COMPUTE_PGM_RSRC2:TGID_Z_EN: 0
; COMPUTE_PGM_RSRC2:TIDIG_COMP_CNT: 0
	.section	.text._ZL23ssm_conv_long_token_f32ILb1ELm128ELm9ELl32EEvPKfS1_S1_iiiiPfiiil,"axG",@progbits,_ZL23ssm_conv_long_token_f32ILb1ELm128ELm9ELl32EEvPKfS1_S1_iiiiPfiiil,comdat
	.globl	_ZL23ssm_conv_long_token_f32ILb1ELm128ELm9ELl32EEvPKfS1_S1_iiiiPfiiil ; -- Begin function _ZL23ssm_conv_long_token_f32ILb1ELm128ELm9ELl32EEvPKfS1_S1_iiiiPfiiil
	.p2align	8
	.type	_ZL23ssm_conv_long_token_f32ILb1ELm128ELm9ELl32EEvPKfS1_S1_iiiiPfiiil,@function
_ZL23ssm_conv_long_token_f32ILb1ELm128ELm9ELl32EEvPKfS1_S1_iiiiPfiiil: ; @_ZL23ssm_conv_long_token_f32ILb1ELm128ELm9ELl32EEvPKfS1_S1_iiiiPfiiil
; %bb.0:
	s_load_dwordx2 s[12:13], s[4:5], 0x0
	s_load_dwordx4 s[0:3], s[4:5], 0x18
	s_mov_b32 s10, s7
	v_mul_u32_u24_e32 v1, 0x667, v0
	v_lshrrev_b32_e32 v4, 16, v1
	v_mul_lo_u16_e32 v1, 40, v4
	s_waitcnt lgkmcnt(0)
	s_mul_i32 s2, s2, s6
	s_ashr_i32 s7, s2, 31
	s_add_u32 s2, s12, s2
	s_addc_u32 s7, s13, s7
	s_ashr_i32 s11, s10, 31
	s_lshl_b64 s[12:13], s[10:11], 7
	s_ashr_i32 s9, s1, 31
	s_mul_i32 s9, s12, s9
	s_mul_hi_u32 s14, s12, s1
	s_lshr_b64 s[10:11], s[10:11], 25
	s_add_i32 s9, s14, s9
	s_mul_i32 s10, s10, s1
	s_add_i32 s9, s9, s10
	s_mul_i32 s10, s12, s1
	s_add_u32 s2, s2, s10
	s_addc_u32 s7, s7, s9
	s_ashr_i32 s9, s8, 31
	s_lshl_b64 s[14:15], s[8:9], 5
	s_ashr_i32 s10, s0, 31
	s_mul_i32 s10, s14, s10
	s_mul_hi_u32 s11, s14, s0
	s_lshr_b64 s[8:9], s[8:9], 27
	s_add_i32 s10, s11, s10
	s_mul_i32 s8, s8, s0
	s_add_i32 s10, s10, s8
	s_mul_i32 s0, s14, s0
	s_add_u32 s2, s2, s0
	s_addc_u32 s7, s7, s10
	s_ashr_i32 s20, s1, 2
	v_sub_u16_e32 v1, v0, v1
	v_mad_u64_u32 v[2:3], s[0:1], s20, v4, v[1:2]
	v_mov_b32_e32 v5, s7
	s_movk_i32 s9, 0xa0
	v_ashrrev_i32_e32 v3, 31, v2
	v_lshlrev_b64 v[2:3], 2, v[2:3]
	s_movk_i32 s8, 0x80
	v_add_co_u32_e32 v2, vcc, s2, v2
	v_addc_co_u32_e32 v3, vcc, v5, v3, vcc
	global_load_dword v2, v[2:3], off
	v_mul_u32_u24_e32 v3, 0xa0, v4
	v_lshlrev_b32_e32 v5, 2, v1
	v_add3_u32 v3, 0, v3, v5
	v_or_b32_e32 v1, 0x80, v1
	v_mov_b32_e32 v5, s7
	s_waitcnt vmcnt(0)
	ds_write_b32 v3, v2
	v_mul_lo_u16_e32 v2, 0xcd, v1
	v_lshrrev_b16_e32 v2, 13, v2
	v_add_u32_e32 v4, v4, v2
	v_mul_lo_u16_e32 v2, 40, v2
	v_sub_u16_e32 v1, v1, v2
	v_and_b32_e32 v1, 0xff, v1
	v_mad_u64_u32 v[2:3], s[0:1], v4, s20, v[1:2]
	v_ashrrev_i32_e32 v3, 31, v2
	v_lshlrev_b64 v[2:3], 2, v[2:3]
	v_add_co_u32_e32 v2, vcc, s2, v2
	v_addc_co_u32_e32 v3, vcc, v5, v3, vcc
	global_load_dword v2, v[2:3], off
	v_mul_u32_u24_e32 v3, 0xa0, v4
	v_lshlrev_b32_e32 v5, 2, v1
	v_add3_u32 v3, 0, v3, v5
	v_or_b32_e32 v1, 0x80, v1
	v_mov_b32_e32 v5, s7
	s_waitcnt vmcnt(0)
	ds_write_b32 v3, v2
	v_mul_lo_u16_e32 v2, 0xcd, v1
	v_lshrrev_b16_e32 v2, 13, v2
	v_add_u32_e32 v4, v4, v2
	v_mul_lo_u16_e32 v2, 40, v2
	v_sub_u16_e32 v1, v1, v2
	v_and_b32_e32 v1, 0xff, v1
	v_mad_u64_u32 v[2:3], s[0:1], v4, s20, v[1:2]
	v_ashrrev_i32_e32 v3, 31, v2
	v_lshlrev_b64 v[2:3], 2, v[2:3]
	;; [unrolled: 19-line block ×6, first 2 shown]
	v_add_co_u32_e32 v2, vcc, s2, v2
	v_addc_co_u32_e32 v3, vcc, v5, v3, vcc
	global_load_dword v2, v[2:3], off
	v_mul_lo_u32 v3, v4, s9
	v_lshlrev_b32_e32 v5, 2, v1
	v_or_b32_e32 v1, 0x80, v1
	v_add3_u32 v3, 0, v3, v5
	v_mov_b32_e32 v5, s7
	s_waitcnt vmcnt(0)
	ds_write_b32 v3, v2
	v_mul_lo_u16_e32 v2, 0xcd, v1
	v_lshrrev_b16_e32 v2, 13, v2
	v_add_u32_e32 v4, v4, v2
	v_mul_lo_u16_e32 v2, 40, v2
	v_sub_u16_e32 v1, v1, v2
	v_and_b32_e32 v1, 0xff, v1
	v_mad_u64_u32 v[2:3], s[0:1], v4, s20, v[1:2]
	v_ashrrev_i32_e32 v3, 31, v2
	v_lshlrev_b64 v[2:3], 2, v[2:3]
	v_add_co_u32_e32 v2, vcc, s2, v2
	v_addc_co_u32_e32 v3, vcc, v5, v3, vcc
	global_load_dword v2, v[2:3], off
	v_mul_lo_u32 v3, v4, s9
	v_lshlrev_b32_e32 v5, 2, v1
	v_or_b32_e32 v1, 0x80, v1
	v_add3_u32 v3, 0, v3, v5
	v_mov_b32_e32 v5, s7
	s_waitcnt vmcnt(0)
	ds_write_b32 v3, v2
	v_mul_lo_u16_e32 v2, 0xcd, v1
	v_lshrrev_b16_e32 v2, 13, v2
	v_add_u32_e32 v4, v4, v2
	v_mul_lo_u16_e32 v2, 40, v2
	v_sub_u16_e32 v1, v1, v2
	v_and_b32_e32 v1, 0xff, v1
	v_mad_u64_u32 v[2:3], s[0:1], v4, s20, v[1:2]
	v_ashrrev_i32_e32 v3, 31, v2
	v_lshlrev_b64 v[2:3], 2, v[2:3]
	;; [unrolled: 19-line block ×19, first 2 shown]
	v_add_co_u32_e32 v2, vcc, s2, v2
	v_addc_co_u32_e32 v3, vcc, v5, v3, vcc
	global_load_dword v2, v[2:3], off
	v_mul_lo_u32 v3, v4, s9
	v_lshlrev_b32_e32 v5, 2, v1
	v_or_b32_e32 v1, 0x80, v1
	v_add3_u32 v3, 0, v3, v5
	s_waitcnt vmcnt(0)
	ds_write_b32 v3, v2
	v_mul_lo_u16_e32 v2, 0xcd, v1
	v_lshrrev_b16_e32 v3, 13, v2
	v_add_u32_e32 v2, v4, v3
	v_mul_lo_u16_e32 v3, 40, v3
	v_sub_u16_e32 v1, v1, v3
	v_and_b32_e32 v1, 0xff, v1
	v_cmp_gt_u32_e32 vcc, s8, v2
	s_and_saveexec_b64 s[0:1], vcc
	s_cbranch_execz .LBB7_2
; %bb.1:
	v_mad_u64_u32 v[3:4], s[10:11], v2, s20, v[1:2]
	v_mov_b32_e32 v5, s7
	v_ashrrev_i32_e32 v4, 31, v3
	v_lshlrev_b64 v[3:4], 2, v[3:4]
	v_add_co_u32_e32 v3, vcc, s2, v3
	v_addc_co_u32_e32 v4, vcc, v5, v4, vcc
	global_load_dword v3, v[3:4], off
	v_mul_lo_u32 v4, v2, s9
	v_lshlrev_b32_e32 v5, 2, v1
	v_add3_u32 v4, 0, v4, v5
	s_waitcnt vmcnt(0)
	ds_write_b32 v4, v3
.LBB7_2:
	s_or_b64 exec, exec, s[0:1]
	v_or_b32_e32 v1, 0x80, v1
	v_mul_lo_u16_e32 v3, 0xcd, v1
	v_lshrrev_b16_e32 v3, 13, v3
	v_add_u32_e32 v2, v2, v3
	v_mul_lo_u16_e32 v3, 40, v3
	v_sub_u16_e32 v1, v1, v3
	v_and_b32_e32 v1, 0xff, v1
	v_cmp_gt_u32_e32 vcc, s8, v2
	s_and_saveexec_b64 s[0:1], vcc
	s_cbranch_execz .LBB7_4
; %bb.3:
	v_mad_u64_u32 v[3:4], s[8:9], v2, s20, v[1:2]
	v_mov_b32_e32 v5, s7
	s_movk_i32 s8, 0xa0
	v_ashrrev_i32_e32 v4, 31, v3
	v_lshlrev_b64 v[3:4], 2, v[3:4]
	v_add_co_u32_e32 v3, vcc, s2, v3
	v_addc_co_u32_e32 v4, vcc, v5, v4, vcc
	global_load_dword v3, v[3:4], off
	v_mul_lo_u32 v4, v2, s8
	v_lshlrev_b32_e32 v5, 2, v1
	v_add3_u32 v4, 0, v4, v5
	s_waitcnt vmcnt(0)
	ds_write_b32 v4, v3
.LBB7_4:
	s_or_b64 exec, exec, s[0:1]
	v_or_b32_e32 v1, 0x80, v1
	v_mul_lo_u16_e32 v3, 0xcd, v1
	v_lshrrev_b16_e32 v3, 13, v3
	v_add_u32_e32 v2, v2, v3
	v_mul_lo_u16_e32 v3, 40, v3
	s_movk_i32 s8, 0x80
	v_sub_u16_e32 v1, v1, v3
	v_and_b32_e32 v1, 0xff, v1
	v_cmp_gt_u32_e32 vcc, s8, v2
	s_and_saveexec_b64 s[0:1], vcc
	s_cbranch_execz .LBB7_6
; %bb.5:
	v_mad_u64_u32 v[3:4], s[10:11], v2, s20, v[1:2]
	v_mov_b32_e32 v5, s7
	s_movk_i32 s9, 0xa0
	v_ashrrev_i32_e32 v4, 31, v3
	v_lshlrev_b64 v[3:4], 2, v[3:4]
	v_add_co_u32_e32 v3, vcc, s2, v3
	v_addc_co_u32_e32 v4, vcc, v5, v4, vcc
	global_load_dword v3, v[3:4], off
	v_mul_lo_u32 v4, v2, s9
	v_lshlrev_b32_e32 v5, 2, v1
	v_add3_u32 v4, 0, v4, v5
	s_waitcnt vmcnt(0)
	ds_write_b32 v4, v3
.LBB7_6:
	s_or_b64 exec, exec, s[0:1]
	v_or_b32_e32 v1, 0x80, v1
	v_mul_lo_u16_e32 v3, 0xcd, v1
	v_lshrrev_b16_e32 v3, 13, v3
	v_add_u32_e32 v2, v2, v3
	v_mul_lo_u16_e32 v3, 40, v3
	v_sub_u16_e32 v1, v1, v3
	v_and_b32_e32 v1, 0xff, v1
	v_cmp_gt_u32_e32 vcc, s8, v2
	s_and_saveexec_b64 s[0:1], vcc
	s_cbranch_execz .LBB7_8
; %bb.7:
	v_mad_u64_u32 v[3:4], s[8:9], v2, s20, v[1:2]
	v_mov_b32_e32 v5, s7
	s_movk_i32 s8, 0xa0
	v_ashrrev_i32_e32 v4, 31, v3
	v_lshlrev_b64 v[3:4], 2, v[3:4]
	v_add_co_u32_e32 v3, vcc, s2, v3
	v_addc_co_u32_e32 v4, vcc, v5, v4, vcc
	global_load_dword v3, v[3:4], off
	v_mul_lo_u32 v4, v2, s8
	v_lshlrev_b32_e32 v5, 2, v1
	v_add3_u32 v4, 0, v4, v5
	s_waitcnt vmcnt(0)
	ds_write_b32 v4, v3
.LBB7_8:
	s_or_b64 exec, exec, s[0:1]
	v_or_b32_e32 v1, 0x80, v1
	v_mul_lo_u16_e32 v3, 0xcd, v1
	v_lshrrev_b16_e32 v3, 13, v3
	v_add_u32_e32 v2, v2, v3
	v_mul_lo_u16_e32 v3, 40, v3
	s_movk_i32 s8, 0x80
	v_sub_u16_e32 v1, v1, v3
	v_and_b32_e32 v1, 0xff, v1
	v_cmp_gt_u32_e32 vcc, s8, v2
	s_and_saveexec_b64 s[0:1], vcc
	s_cbranch_execz .LBB7_10
; %bb.9:
	v_mad_u64_u32 v[3:4], s[10:11], v2, s20, v[1:2]
	v_mov_b32_e32 v5, s7
	s_movk_i32 s9, 0xa0
	v_ashrrev_i32_e32 v4, 31, v3
	v_lshlrev_b64 v[3:4], 2, v[3:4]
	v_add_co_u32_e32 v3, vcc, s2, v3
	v_addc_co_u32_e32 v4, vcc, v5, v4, vcc
	global_load_dword v3, v[3:4], off
	v_mul_lo_u32 v4, v2, s9
	v_lshlrev_b32_e32 v5, 2, v1
	v_add3_u32 v4, 0, v4, v5
	s_waitcnt vmcnt(0)
	ds_write_b32 v4, v3
.LBB7_10:
	;; [unrolled: 53-line block ×3, first 2 shown]
	s_or_b64 exec, exec, s[0:1]
	s_load_dwordx4 s[8:11], s[4:5], 0x8
	s_load_dwordx2 s[0:1], s[4:5], 0x28
	s_movk_i32 s16, 0x380
	v_cmp_gt_u32_e32 vcc, s16, v0
	s_and_saveexec_b64 s[16:17], vcc
	s_cbranch_execz .LBB7_35
; %bb.15:
	v_or_b32_e32 v1, 0x80, v1
	v_mul_lo_u16_e32 v3, 0xcd, v1
	v_lshrrev_b16_e32 v3, 13, v3
	v_add_u32_e32 v2, v2, v3
	v_mul_lo_u16_e32 v3, 40, v3
	s_movk_i32 s18, 0x80
	v_sub_u16_e32 v1, v1, v3
	v_and_b32_e32 v1, 0xff, v1
	v_cmp_gt_u32_e32 vcc, s18, v2
	s_and_saveexec_b64 s[18:19], vcc
	s_cbranch_execz .LBB7_17
; %bb.16:
	v_mad_u64_u32 v[3:4], s[22:23], v2, s20, v[1:2]
	v_mov_b32_e32 v5, s7
	s_movk_i32 s21, 0xa0
	v_ashrrev_i32_e32 v4, 31, v3
	v_lshlrev_b64 v[3:4], 2, v[3:4]
	v_add_co_u32_e32 v3, vcc, s2, v3
	v_addc_co_u32_e32 v4, vcc, v5, v4, vcc
	global_load_dword v3, v[3:4], off
	v_mul_lo_u32 v4, v2, s21
	v_lshlrev_b32_e32 v5, 2, v1
	v_add3_u32 v4, 0, v4, v5
	s_waitcnt vmcnt(0)
	ds_write_b32 v4, v3
.LBB7_17:
	s_or_b64 exec, exec, s[18:19]
	s_movk_i32 s18, 0x300
	v_cmp_gt_u32_e32 vcc, s18, v0
	s_and_b64 exec, exec, vcc
	s_cbranch_execz .LBB7_35
; %bb.18:
	v_or_b32_e32 v1, 0x80, v1
	v_mul_lo_u16_e32 v3, 0xcd, v1
	v_lshrrev_b16_e32 v3, 13, v3
	v_add_u32_e32 v2, v2, v3
	v_mul_lo_u16_e32 v3, 40, v3
	s_movk_i32 s18, 0x80
	v_sub_u16_e32 v1, v1, v3
	v_and_b32_e32 v1, 0xff, v1
	v_cmp_gt_u32_e32 vcc, s18, v2
	s_and_saveexec_b64 s[18:19], vcc
	s_cbranch_execz .LBB7_20
; %bb.19:
	v_mad_u64_u32 v[3:4], s[22:23], v2, s20, v[1:2]
	v_mov_b32_e32 v5, s7
	s_movk_i32 s21, 0xa0
	v_ashrrev_i32_e32 v4, 31, v3
	v_lshlrev_b64 v[3:4], 2, v[3:4]
	v_add_co_u32_e32 v3, vcc, s2, v3
	v_addc_co_u32_e32 v4, vcc, v5, v4, vcc
	global_load_dword v3, v[3:4], off
	v_mul_lo_u32 v4, v2, s21
	v_lshlrev_b32_e32 v5, 2, v1
	v_add3_u32 v4, 0, v4, v5
	s_waitcnt vmcnt(0)
	ds_write_b32 v4, v3
.LBB7_20:
	s_or_b64 exec, exec, s[18:19]
	s_movk_i32 s18, 0x280
	v_cmp_gt_u32_e32 vcc, s18, v0
	s_and_b64 exec, exec, vcc
	;; [unrolled: 32-line block ×5, first 2 shown]
	s_cbranch_execz .LBB7_35
; %bb.30:
	v_or_b32_e32 v1, 0x80, v1
	v_mul_lo_u16_e32 v3, 0xcd, v1
	v_lshrrev_b16_e32 v3, 13, v3
	v_add_u32_e32 v2, v2, v3
	v_mul_lo_u16_e32 v3, 40, v3
	s_movk_i32 s21, 0x80
	v_sub_u16_e32 v1, v1, v3
	v_and_b32_e32 v1, 0xff, v1
	v_cmp_gt_u32_e32 vcc, s21, v2
	s_and_saveexec_b64 s[18:19], vcc
	s_cbranch_execz .LBB7_32
; %bb.31:
	v_mad_u64_u32 v[3:4], s[22:23], v2, s20, v[1:2]
	v_mov_b32_e32 v5, s7
	s_movk_i32 s22, 0xa0
	v_ashrrev_i32_e32 v4, 31, v3
	v_lshlrev_b64 v[3:4], 2, v[3:4]
	v_add_co_u32_e32 v3, vcc, s2, v3
	v_addc_co_u32_e32 v4, vcc, v5, v4, vcc
	global_load_dword v3, v[3:4], off
	v_mul_lo_u32 v4, v2, s22
	v_lshlrev_b32_e32 v5, 2, v1
	v_add3_u32 v4, 0, v4, v5
	s_waitcnt vmcnt(0)
	ds_write_b32 v4, v3
.LBB7_32:
	s_or_b64 exec, exec, s[18:19]
	v_cmp_gt_u32_e32 vcc, s21, v0
	s_and_b64 exec, exec, vcc
	s_cbranch_execz .LBB7_35
; %bb.33:
	v_or_b32_e32 v3, 0x80, v1
	v_mul_lo_u16_e32 v1, 0xcd, v3
	v_lshrrev_b16_e32 v4, 13, v1
	s_movk_i32 s18, 0x80
	v_add_u32_e32 v1, v2, v4
	v_cmp_gt_u32_e32 vcc, s18, v1
	s_and_b64 exec, exec, vcc
	s_cbranch_execz .LBB7_35
; %bb.34:
	v_mul_lo_u16_e32 v2, 40, v4
	v_sub_u16_e32 v2, v3, v2
	v_and_b32_e32 v2, 0xff, v2
	v_mad_u64_u32 v[3:4], s[18:19], v1, s20, v[2:3]
	v_mov_b32_e32 v5, s7
	v_lshlrev_b32_e32 v2, 2, v2
	v_ashrrev_i32_e32 v4, 31, v3
	v_lshlrev_b64 v[3:4], 2, v[3:4]
	v_add_co_u32_e32 v3, vcc, s2, v3
	v_addc_co_u32_e32 v4, vcc, v5, v4, vcc
	global_load_dword v3, v[3:4], off
	s_movk_i32 s2, 0xa0
	v_mul_lo_u32 v1, v1, s2
	v_add3_u32 v1, 0, v1, v2
	s_waitcnt vmcnt(0)
	ds_write_b32 v1, v3
.LBB7_35:
	s_or_b64 exec, exec, s[16:17]
	s_ashr_i32 s2, s3, 31
	s_mul_hi_u32 s7, s12, s3
	s_mul_i32 s2, s12, s2
	s_add_i32 s2, s7, s2
	s_mul_i32 s7, s13, s3
	s_add_i32 s2, s2, s7
	s_mul_i32 s7, s12, s3
	s_waitcnt lgkmcnt(0)
	s_add_u32 s7, s8, s7
	s_addc_u32 s2, s9, s2
	s_ashr_i32 s3, s3, 2
	v_mul_lo_u32 v1, s3, v0
	v_mov_b32_e32 v3, s2
	s_barrier
	v_ashrrev_i32_e32 v2, 31, v1
	v_lshlrev_b64 v[1:2], 2, v[1:2]
	v_add_co_u32_e32 v9, vcc, s7, v1
	v_addc_co_u32_e32 v10, vcc, v3, v2, vcc
	global_load_dword v13, v[9:10], off offset:32
	global_load_dwordx4 v[1:4], v[9:10], off offset:16
	global_load_dwordx4 v[5:8], v[9:10], off
	s_cmp_eq_u64 s[10:11], 0
	v_lshlrev_b32_e32 v9, 2, v0
	s_cbranch_scc1 .LBB7_37
; %bb.36:
	s_lshl_b64 s[2:3], s[12:13], 2
	s_add_u32 s2, s10, s2
	s_addc_u32 s3, s11, s3
	global_load_dword v14, v9, s[2:3]
	s_branch .LBB7_38
.LBB7_37:
	v_mov_b32_e32 v14, 0
.LBB7_38:
	s_load_dwordx2 s[2:3], s[4:5], 0x40
	s_waitcnt lgkmcnt(0)
	s_sub_u32 s2, s2, s14
	s_subb_u32 s3, s3, s15
	v_cmp_lt_i64_e64 s[8:9], s[2:3], 1
	s_and_b64 vcc, exec, s[8:9]
	s_cbranch_vccnz .LBB7_41
; %bb.39:
	s_load_dwordx4 s[8:11], s[4:5], 0x30
	v_mov_b32_e32 v15, 0x7f800000
	s_waitcnt lgkmcnt(0)
	s_ashr_i32 s4, s9, 31
	s_mul_hi_u32 s5, s14, s9
	s_mul_i32 s4, s14, s4
	s_mul_i32 s10, s10, s6
	;; [unrolled: 1-line block ×3, first 2 shown]
	s_add_i32 s4, s5, s4
	s_add_i32 s15, s4, s6
	s_ashr_i32 s4, s8, 31
	s_mul_hi_u32 s5, s12, s8
	s_mul_i32 s4, s12, s4
	s_add_i32 s4, s5, s4
	s_mul_i32 s5, s13, s8
	s_add_i32 s13, s4, s5
	s_ashr_i32 s4, s9, 2
	s_movk_i32 s5, 0xa0
	v_cmp_lt_u64_e64 s[6:7], s[2:3], 32
	s_ashr_i32 s11, s10, 31
	v_mad_u32_u24 v0, v0, s5, 0
	s_ashr_i32 s5, s4, 31
	s_mul_i32 s14, s14, s9
	s_mul_i32 s8, s12, s8
	s_and_b64 s[6:7], s[6:7], exec
	s_cselect_b32 s3, s3, 0
	s_cselect_b32 s2, s2, 32
	s_add_u32 s6, s8, s14
	s_addc_u32 s7, s13, s15
	s_add_u32 s0, s0, s10
	s_addc_u32 s1, s1, s11
	ds_read_b32 v11, v0
	s_add_u32 s0, s0, s6
	s_addc_u32 s1, s1, s7
	v_mov_b32_e32 v10, s1
	v_add_co_u32_e32 v9, vcc, s0, v9
	s_lshl_b64 s[0:1], s[4:5], 2
	v_addc_co_u32_e32 v10, vcc, 0, v10, vcc
	s_mov_b32 s4, 0xbfb8aa3b
	s_mov_b32 s5, 0x42ce8ed0
	;; [unrolled: 1-line block ×3, first 2 shown]
	v_mov_b32_e32 v16, s1
	s_waitcnt vmcnt(0)
.LBB7_40:                               ; =>This Inner Loop Header: Depth=1
	s_waitcnt lgkmcnt(0)
	v_fma_f32 v23, v5, v11, 0
	ds_read2_b32 v[11:12], v0 offset0:1 offset1:2
	ds_read2_b32 v[17:18], v0 offset0:3 offset1:4
	;; [unrolled: 1-line block ×4, first 2 shown]
	s_add_u32 s2, s2, -1
	s_waitcnt lgkmcnt(3)
	v_fmac_f32_e32 v23, v6, v11
	v_fmac_f32_e32 v23, v7, v12
	s_waitcnt lgkmcnt(2)
	v_fmac_f32_e32 v23, v8, v17
	v_fmac_f32_e32 v23, v1, v18
	;; [unrolled: 3-line block ×4, first 2 shown]
	v_add_f32_e32 v12, v14, v23
	v_mul_f32_e32 v17, 0xbfb8aa3b, v12
	v_fma_f32 v18, v12, s4, -v17
	v_rndne_f32_e32 v19, v17
	v_fmac_f32_e32 v18, 0xb2a5705f, v12
	v_sub_f32_e32 v17, v17, v19
	v_add_f32_e32 v17, v17, v18
	v_cvt_i32_f32_e32 v18, v19
	v_exp_f32_e32 v17, v17
	v_cmp_nlt_f32_e32 vcc, s5, v12
	s_addc_u32 s3, s3, -1
	v_add_u32_e32 v0, 4, v0
	v_ldexp_f32 v17, v17, v18
	v_cndmask_b32_e32 v17, 0, v17, vcc
	v_cmp_ngt_f32_e32 vcc, s6, v12
	v_cndmask_b32_e32 v17, v15, v17, vcc
	v_add_f32_e32 v17, 1.0, v17
	v_div_scale_f32 v18, s[8:9], v17, v17, v12
	s_cmp_lg_u64 s[2:3], 0
	v_rcp_f32_e32 v19, v18
	v_fma_f32 v20, -v18, v19, 1.0
	v_fmac_f32_e32 v19, v20, v19
	v_div_scale_f32 v20, vcc, v12, v17, v12
	v_mul_f32_e32 v21, v20, v19
	v_fma_f32 v22, -v18, v21, v20
	v_fmac_f32_e32 v21, v22, v19
	v_fma_f32 v18, -v18, v21, v20
	v_div_fmas_f32 v18, v18, v19, v21
	v_div_fixup_f32 v12, v18, v17, v12
	global_store_dword v[9:10], v12, off
	v_add_co_u32_e32 v9, vcc, s0, v9
	v_addc_co_u32_e32 v10, vcc, v10, v16, vcc
	s_cbranch_scc1 .LBB7_40
.LBB7_41:
	s_endpgm
	.section	.rodata,"a",@progbits
	.p2align	6, 0x0
	.amdhsa_kernel _ZL23ssm_conv_long_token_f32ILb1ELm128ELm9ELl32EEvPKfS1_S1_iiiiPfiiil
		.amdhsa_group_segment_fixed_size 0
		.amdhsa_private_segment_fixed_size 0
		.amdhsa_kernarg_size 72
		.amdhsa_user_sgpr_count 6
		.amdhsa_user_sgpr_private_segment_buffer 1
		.amdhsa_user_sgpr_dispatch_ptr 0
		.amdhsa_user_sgpr_queue_ptr 0
		.amdhsa_user_sgpr_kernarg_segment_ptr 1
		.amdhsa_user_sgpr_dispatch_id 0
		.amdhsa_user_sgpr_flat_scratch_init 0
		.amdhsa_user_sgpr_private_segment_size 0
		.amdhsa_uses_dynamic_stack 0
		.amdhsa_system_sgpr_private_segment_wavefront_offset 0
		.amdhsa_system_sgpr_workgroup_id_x 1
		.amdhsa_system_sgpr_workgroup_id_y 1
		.amdhsa_system_sgpr_workgroup_id_z 1
		.amdhsa_system_sgpr_workgroup_info 0
		.amdhsa_system_vgpr_workitem_id 0
		.amdhsa_next_free_vgpr 24
		.amdhsa_next_free_sgpr 24
		.amdhsa_reserve_vcc 1
		.amdhsa_reserve_flat_scratch 0
		.amdhsa_float_round_mode_32 0
		.amdhsa_float_round_mode_16_64 0
		.amdhsa_float_denorm_mode_32 3
		.amdhsa_float_denorm_mode_16_64 3
		.amdhsa_dx10_clamp 1
		.amdhsa_ieee_mode 1
		.amdhsa_fp16_overflow 0
		.amdhsa_exception_fp_ieee_invalid_op 0
		.amdhsa_exception_fp_denorm_src 0
		.amdhsa_exception_fp_ieee_div_zero 0
		.amdhsa_exception_fp_ieee_overflow 0
		.amdhsa_exception_fp_ieee_underflow 0
		.amdhsa_exception_fp_ieee_inexact 0
		.amdhsa_exception_int_div_zero 0
	.end_amdhsa_kernel
	.section	.text._ZL23ssm_conv_long_token_f32ILb1ELm128ELm9ELl32EEvPKfS1_S1_iiiiPfiiil,"axG",@progbits,_ZL23ssm_conv_long_token_f32ILb1ELm128ELm9ELl32EEvPKfS1_S1_iiiiPfiiil,comdat
.Lfunc_end7:
	.size	_ZL23ssm_conv_long_token_f32ILb1ELm128ELm9ELl32EEvPKfS1_S1_iiiiPfiiil, .Lfunc_end7-_ZL23ssm_conv_long_token_f32ILb1ELm128ELm9ELl32EEvPKfS1_S1_iiiiPfiiil
                                        ; -- End function
	.set _ZL23ssm_conv_long_token_f32ILb1ELm128ELm9ELl32EEvPKfS1_S1_iiiiPfiiil.num_vgpr, 24
	.set _ZL23ssm_conv_long_token_f32ILb1ELm128ELm9ELl32EEvPKfS1_S1_iiiiPfiiil.num_agpr, 0
	.set _ZL23ssm_conv_long_token_f32ILb1ELm128ELm9ELl32EEvPKfS1_S1_iiiiPfiiil.numbered_sgpr, 24
	.set _ZL23ssm_conv_long_token_f32ILb1ELm128ELm9ELl32EEvPKfS1_S1_iiiiPfiiil.num_named_barrier, 0
	.set _ZL23ssm_conv_long_token_f32ILb1ELm128ELm9ELl32EEvPKfS1_S1_iiiiPfiiil.private_seg_size, 0
	.set _ZL23ssm_conv_long_token_f32ILb1ELm128ELm9ELl32EEvPKfS1_S1_iiiiPfiiil.uses_vcc, 1
	.set _ZL23ssm_conv_long_token_f32ILb1ELm128ELm9ELl32EEvPKfS1_S1_iiiiPfiiil.uses_flat_scratch, 0
	.set _ZL23ssm_conv_long_token_f32ILb1ELm128ELm9ELl32EEvPKfS1_S1_iiiiPfiiil.has_dyn_sized_stack, 0
	.set _ZL23ssm_conv_long_token_f32ILb1ELm128ELm9ELl32EEvPKfS1_S1_iiiiPfiiil.has_recursion, 0
	.set _ZL23ssm_conv_long_token_f32ILb1ELm128ELm9ELl32EEvPKfS1_S1_iiiiPfiiil.has_indirect_call, 0
	.section	.AMDGPU.csdata,"",@progbits
; Kernel info:
; codeLenInByte = 5712
; TotalNumSgprs: 28
; NumVgprs: 24
; ScratchSize: 0
; MemoryBound: 0
; FloatMode: 240
; IeeeMode: 1
; LDSByteSize: 0 bytes/workgroup (compile time only)
; SGPRBlocks: 3
; VGPRBlocks: 5
; NumSGPRsForWavesPerEU: 28
; NumVGPRsForWavesPerEU: 24
; Occupancy: 10
; WaveLimiterHint : 0
; COMPUTE_PGM_RSRC2:SCRATCH_EN: 0
; COMPUTE_PGM_RSRC2:USER_SGPR: 6
; COMPUTE_PGM_RSRC2:TRAP_HANDLER: 0
; COMPUTE_PGM_RSRC2:TGID_X_EN: 1
; COMPUTE_PGM_RSRC2:TGID_Y_EN: 1
; COMPUTE_PGM_RSRC2:TGID_Z_EN: 1
; COMPUTE_PGM_RSRC2:TIDIG_COMP_CNT: 0
	.section	.text._ZL12ssm_conv_f32ILb1ELm128ELm15EEvPKfS1_S1_iiiiPfiiil,"axG",@progbits,_ZL12ssm_conv_f32ILb1ELm128ELm15EEvPKfS1_S1_iiiiPfiiil,comdat
	.globl	_ZL12ssm_conv_f32ILb1ELm128ELm15EEvPKfS1_S1_iiiiPfiiil ; -- Begin function _ZL12ssm_conv_f32ILb1ELm128ELm15EEvPKfS1_S1_iiiiPfiiil
	.p2align	8
	.type	_ZL12ssm_conv_f32ILb1ELm128ELm15EEvPKfS1_S1_iiiiPfiiil,@function
_ZL12ssm_conv_f32ILb1ELm128ELm15EEvPKfS1_S1_iiiiPfiiil: ; @_ZL12ssm_conv_f32ILb1ELm128ELm15EEvPKfS1_S1_iiiiPfiiil
; %bb.0:
	s_load_dwordx4 s[12:15], s[4:5], 0x1c
	s_load_dwordx4 s[0:3], s[4:5], 0x0
	s_load_dwordx2 s[8:9], s[4:5], 0x10
	s_mov_b32 s10, s7
	s_ashr_i32 s11, s7, 31
	s_lshl_b64 s[16:17], s[10:11], 7
	s_waitcnt lgkmcnt(0)
	s_ashr_i32 s7, s14, 31
	s_mul_i32 s7, s16, s7
	s_mul_hi_u32 s15, s16, s14
	s_lshr_b64 s[10:11], s[10:11], 25
	s_add_i32 s7, s15, s7
	s_mul_i32 s10, s10, s14
	s_add_i32 s7, s7, s10
	s_mul_i32 s10, s16, s14
	s_add_u32 s20, s2, s10
	s_addc_u32 s7, s3, s7
	s_cmp_eq_u64 s[8:9], 0
	v_lshlrev_b32_e32 v15, 2, v0
	s_cbranch_scc1 .LBB8_2
; %bb.1:
	s_lshl_b64 s[2:3], s[16:17], 2
	s_add_u32 s2, s8, s2
	s_addc_u32 s3, s9, s3
	global_load_dword v35, v15, s[2:3]
	s_load_dwordx2 s[2:3], s[4:5], 0x40
	s_waitcnt lgkmcnt(0)
	v_cmp_lt_i64_e64 s[8:9], s[2:3], 1
	s_and_b64 vcc, exec, s[8:9]
	s_cbranch_vccz .LBB8_3
	s_branch .LBB8_6
.LBB8_2:
	v_mov_b32_e32 v35, 0
	s_load_dwordx2 s[2:3], s[4:5], 0x40
	s_waitcnt lgkmcnt(0)
	v_cmp_lt_i64_e64 s[8:9], s[2:3], 1
	s_and_b64 vcc, exec, s[8:9]
	s_cbranch_vccnz .LBB8_6
.LBB8_3:
	s_ashr_i32 s8, s14, 2
	v_mul_lo_u32 v1, s8, v0
	s_load_dwordx2 s[14:15], s[4:5], 0x28
	s_load_dwordx4 s[8:11], s[4:5], 0x30
	s_ashr_i32 s4, s12, 31
	s_mul_hi_u32 s5, s16, s12
	s_mul_i32 s4, s16, s4
	s_waitcnt lgkmcnt(0)
	s_mul_i32 s11, s13, s6
	s_add_i32 s4, s5, s4
	s_mul_i32 s5, s17, s12
	s_mul_i32 s6, s10, s6
	v_mov_b32_e32 v3, s7
	s_ashr_i32 s13, s11, 31
	s_add_i32 s18, s4, s5
	s_ashr_i32 s7, s6, 31
	s_add_u32 s4, s14, s6
	s_addc_u32 s5, s15, s7
	s_ashr_i32 s10, s8, 31
	s_mul_hi_u32 s21, s16, s8
	s_mul_i32 s10, s16, s10
	s_add_i32 s10, s21, s10
	s_mul_i32 s17, s17, s8
	s_add_i32 s10, s10, s17
	s_mul_i32 s8, s16, s8
	s_add_u32 s4, s4, s8
	s_addc_u32 s5, s5, s10
	s_mul_i32 s19, s16, s12
	s_add_u32 s16, s0, s11
	s_addc_u32 s17, s1, s13
	s_add_u32 s16, s16, s19
	s_addc_u32 s17, s17, s18
	s_ashr_i32 s12, s12, 2
	v_mul_lo_u32 v0, s12, v0
	v_ashrrev_i32_e32 v2, 31, v1
	v_lshlrev_b64 v[1:2], 2, v[1:2]
	s_mov_b32 s12, 0xbfb8aa3b
	v_add_co_u32_e32 v28, vcc, s20, v1
	v_ashrrev_i32_e32 v1, 31, v0
	v_lshlrev_b64 v[31:32], 2, v[0:1]
	v_addc_co_u32_e32 v29, vcc, v3, v2, vcc
	v_mov_b32_e32 v0, s17
	v_add_co_u32_e32 v12, vcc, s16, v31
	v_addc_co_u32_e32 v13, vcc, v0, v32, vcc
	global_load_dwordx4 v[16:19], v[28:29], off
	global_load_dwordx4 v[0:3], v[12:13], off
	global_load_dwordx4 v[4:7], v[12:13], off offset:16
	global_load_dwordx4 v[20:23], v[28:29], off offset:16
	;; [unrolled: 1-line block ×4, first 2 shown]
	s_nop 0
	global_load_dwordx3 v[12:14], v[12:13], off offset:48
	s_nop 0
	global_load_dwordx3 v[28:30], v[28:29], off offset:48
	s_mov_b32 s16, 0xc2b17218
	s_cmp_eq_u64 s[2:3], 1
	s_waitcnt vmcnt(6)
	v_fma_f32 v33, v0, v16, 0
	v_fmac_f32_e32 v33, v1, v17
	v_fmac_f32_e32 v33, v2, v18
	v_fmac_f32_e32 v33, v3, v19
	s_waitcnt vmcnt(4)
	v_fmac_f32_e32 v33, v4, v20
	v_fmac_f32_e32 v33, v5, v21
	v_fmac_f32_e32 v33, v6, v22
	v_fmac_f32_e32 v33, v7, v23
	s_waitcnt vmcnt(2)
	v_fmac_f32_e32 v33, v8, v24
	;; [unrolled: 5-line block ×3, first 2 shown]
	v_fmac_f32_e32 v33, v13, v29
	v_fmac_f32_e32 v33, v14, v30
	v_add_f32_e32 v33, v35, v33
	v_mul_f32_e32 v34, 0xbfb8aa3b, v33
	v_fma_f32 v36, v33, s12, -v34
	v_rndne_f32_e32 v37, v34
	v_fmac_f32_e32 v36, 0xb2a5705f, v33
	v_sub_f32_e32 v34, v34, v37
	v_add_f32_e32 v34, v34, v36
	v_cvt_i32_f32_e32 v37, v37
	v_exp_f32_e32 v34, v34
	s_mov_b32 s12, 0x42ce8ed0
	v_cmp_nlt_f32_e32 vcc, s12, v33
	v_mov_b32_e32 v36, 0x7f800000
	v_ldexp_f32 v34, v34, v37
	v_cndmask_b32_e32 v34, 0, v34, vcc
	v_cmp_ngt_f32_e32 vcc, s16, v33
	v_cndmask_b32_e32 v34, v36, v34, vcc
	v_add_f32_e32 v34, 1.0, v34
	v_div_scale_f32 v37, s[16:17], v34, v34, v33
	v_div_scale_f32 v38, vcc, v33, v34, v33
	v_rcp_f32_e32 v39, v37
	v_fma_f32 v40, -v37, v39, 1.0
	v_fmac_f32_e32 v39, v40, v39
	v_mul_f32_e32 v40, v38, v39
	v_fma_f32 v41, -v37, v40, v38
	v_fmac_f32_e32 v40, v41, v39
	v_fma_f32 v37, -v37, v40, v38
	v_div_fmas_f32 v37, v37, v39, v40
	v_div_fixup_f32 v33, v37, v34, v33
	global_store_dword v15, v33, s[4:5]
	s_cbranch_scc1 .LBB8_6
; %bb.4:
	s_ashr_i32 s4, s9, 2
	s_ashr_i32 s5, s4, 31
	s_add_u32 s2, s2, -1
	s_addc_u32 s3, s3, -1
	s_add_u32 s0, s0, s11
	s_addc_u32 s1, s1, s13
	s_add_u32 s0, s0, s19
	s_addc_u32 s1, s1, s18
	v_mov_b32_e32 v33, s1
	v_add_co_u32_e32 v31, vcc, s0, v31
	s_lshl_b64 s[0:1], s[4:5], 2
	s_add_u32 s4, s8, s0
	s_addc_u32 s5, s10, s1
	s_add_u32 s6, s14, s6
	v_addc_co_u32_e32 v32, vcc, v33, v32, vcc
	s_addc_u32 s7, s15, s7
	v_add_co_u32_e32 v31, vcc, 60, v31
	s_add_u32 s4, s6, s4
	v_addc_co_u32_e32 v32, vcc, 0, v32, vcc
	s_addc_u32 s5, s7, s5
	v_mov_b32_e32 v34, s5
	v_add_co_u32_e32 v33, vcc, s4, v15
	v_addc_co_u32_e32 v34, vcc, 0, v34, vcc
	s_mov_b64 s[4:5], 1
	s_mov_b64 s[6:7], 0
	;; [unrolled: 1-line block ×16, first 2 shown]
.LBB8_5:                                ; =>This Inner Loop Header: Depth=1
	s_mul_i32 s43, s5, 0x88888889
	s_mul_hi_u32 s48, s4, 0x88888889
	s_mul_hi_u32 s41, s5, 0x88888889
	s_add_u32 s43, s43, s48
	s_mul_i32 s39, s4, 0x88888888
	s_addc_u32 s41, s41, 0
	s_mul_hi_u32 s38, s4, 0x88888888
	s_add_u32 s39, s39, s43
	s_addc_u32 s38, s38, 0
	s_add_u32 s38, s41, s38
	s_mul_i32 s46, s5, 0x88888888
	s_addc_u32 s39, 0, 0
	s_mul_hi_u32 s42, s5, 0x88888888
	s_add_u32 s38, s46, s38
	s_addc_u32 s39, s42, s39
	s_mul_i32 s52, s9, 0x88888889
	s_mul_hi_u32 s55, s8, 0x88888889
	s_lshr_b64 s[38:39], s[38:39], 3
	s_mul_hi_u32 s50, s9, 0x88888889
	s_add_u32 s39, s52, s55
	s_mul_i32 s47, s8, 0x88888888
	s_addc_u32 s41, s50, 0
	s_mul_hi_u32 s40, s8, 0x88888888
	s_add_u32 s39, s47, s39
	s_addc_u32 s40, s40, 0
	s_add_u32 s40, s41, s40
	s_mul_i32 s53, s9, 0x88888888
	s_addc_u32 s41, 0, 0
	s_mul_hi_u32 s51, s9, 0x88888888
	s_add_u32 s40, s53, s40
	s_addc_u32 s41, s51, s41
	s_mul_i32 s59, s11, 0x88888889
	s_mul_hi_u32 s62, s10, 0x88888889
	s_lshr_b64 s[40:41], s[40:41], 3
	;; [unrolled: 16-line block ×7, first 2 shown]
	s_mul_hi_u32 s91, s21, 0x88888889
	s_add_u32 s53, s92, s93
	s_mul_i32 s90, s20, 0x88888888
	s_addc_u32 s54, s91, 0
	s_mul_hi_u32 s84, s20, 0x88888888
	s_add_u32 s53, s90, s53
	s_addc_u32 s55, s84, 0
	s_add_u32 s54, s54, s55
	global_load_dword v15, v[31:32], off
	s_mul_i32 s95, s21, 0x88888888
	s_addc_u32 s55, 0, 0
	s_mul_hi_u32 s94, s21, 0x88888888
	s_add_u32 s54, s95, s54
	s_addc_u32 s55, s94, s55
	v_add_co_u32_e32 v31, vcc, 4, v31
	s_mul_i32 s33, s23, 0x88888889
	s_mul_hi_u32 s44, s22, 0x88888889
	s_lshr_b64 s[54:55], s[54:55], 3
	v_addc_co_u32_e32 v32, vcc, 0, v32, vcc
	s_mul_hi_u32 s39, s23, 0x88888889
	s_add_u32 s33, s33, s44
	s_mul_i32 vcc_hi, s22, 0x88888888
	s_addc_u32 s39, s39, 0
	s_mul_hi_u32 vcc_lo, s22, 0x88888888
	s_add_u32 s33, vcc_hi, s33
	s_addc_u32 s56, vcc_lo, 0
	s_add_u32 s39, s39, s56
	s_mul_i32 s59, s23, 0x88888888
	s_addc_u32 s57, 0, 0
	s_mul_hi_u32 s45, s23, 0x88888888
	s_add_u32 s56, s59, s39
	s_addc_u32 s57, s45, s57
	s_mul_i32 s60, s25, 0x88888889
	s_mul_hi_u32 s66, s24, 0x88888889
	s_lshr_b64 s[56:57], s[56:57], 3
	s_mul_hi_u32 s58, s25, 0x88888889
	s_add_u32 s39, s60, s66
	s_mul_i32 s62, s24, 0x88888888
	s_addc_u32 s58, s58, 0
	s_mul_hi_u32 s41, s24, 0x88888888
	s_add_u32 s39, s62, s39
	s_addc_u32 s39, s41, 0
	s_add_u32 s39, s58, s39
	s_mul_i32 s61, s25, 0x88888888
	s_addc_u32 s41, 0, 0
	s_mul_hi_u32 s43, s25, 0x88888888
	s_add_u32 s58, s61, s39
	s_addc_u32 s59, s43, s41
	s_mul_i32 s47, s27, 0x88888889
	s_mul_hi_u32 s68, s26, 0x88888889
	s_mul_i32 s61, s38, 15
	s_lshr_b64 s[38:39], s[58:59], 3
	s_mul_hi_u32 s67, s27, 0x88888889
	s_mul_i32 s58, s38, 15
	s_add_u32 s38, s47, s68
	s_mul_i32 s65, s26, 0x88888888
	s_addc_u32 s39, s67, 0
	s_mul_hi_u32 s64, s26, 0x88888888
	s_add_u32 s38, s65, s38
	s_addc_u32 s38, s64, 0
	s_add_u32 s38, s39, s38
	s_mul_i32 s69, s27, 0x88888888
	s_addc_u32 s39, 0, 0
	s_mul_hi_u32 s63, s27, 0x88888888
	s_add_u32 s38, s69, s38
	s_addc_u32 s39, s63, s39
	s_mul_i32 s70, s29, 0x88888889
	s_mul_hi_u32 s73, s28, 0x88888889
	s_lshr_b64 s[38:39], s[38:39], 3
	s_mul_hi_u32 s72, s29, 0x88888889
	s_mul_i32 s47, s38, 15
	s_add_u32 s38, s70, s73
	s_mul_i32 s49, s28, 0x88888888
	s_addc_u32 s39, s72, 0
	s_mul_hi_u32 s71, s28, 0x88888888
	s_add_u32 s38, s49, s38
	s_addc_u32 s38, s71, 0
	s_add_u32 s38, s39, s38
	s_mul_i32 s51, s29, 0x88888888
	s_addc_u32 s39, 0, 0
	s_mul_hi_u32 s74, s29, 0x88888888
	s_add_u32 s38, s51, s38
	s_addc_u32 s39, s74, s39
	s_mul_i32 s78, s31, 0x88888889
	s_mul_hi_u32 s53, s30, 0x88888889
	;; [unrolled: 17-line block ×5, first 2 shown]
	s_lshr_b64 s[38:39], s[38:39], 3
	s_mul_hi_u32 s87, s7, 0x88888889
	s_mul_i32 s41, s38, 15
	s_add_u32 s38, s88, s89
	s_mul_i32 s86, s6, 0x88888888
	s_addc_u32 s39, s87, 0
	s_mul_hi_u32 s85, s6, 0x88888888
	s_add_u32 s38, s86, s38
	s_addc_u32 s38, s85, 0
	s_add_u32 s38, s39, s38
	s_mul_i32 s59, s7, 0x88888888
	s_addc_u32 s39, 0, 0
	s_mul_hi_u32 s90, s7, 0x88888888
	s_add_u32 s38, s59, s38
	s_addc_u32 s39, s90, s39
	s_lshr_b64 s[38:39], s[38:39], 3
	s_sub_i32 s43, s6, s61
	s_mul_i32 s38, s38, -15
	s_add_i32 s43, s43, 1
	s_add_i32 s38, s6, s38
	s_add_u32 s4, s4, 1
	s_waitcnt vmcnt(0)
	s_set_gpr_idx_on s38, gpr_idx(DST)
	v_mov_b32_e32 v0, v15
	s_set_gpr_idx_off
	s_addc_u32 s5, s5, 0
	s_sub_i32 s38, s6, s41
	s_set_gpr_idx_on s43, gpr_idx(SRC0)
	v_mov_b32_e32 v37, v0
	s_set_gpr_idx_off
	s_sub_i32 s33, s6, s33
	s_add_i32 s38, s38, 2
	s_sub_i32 s39, s6, s51
	v_fma_f32 v37, v37, v16, 0
	s_add_i32 s33, s33, 3
	s_set_gpr_idx_on s38, gpr_idx(SRC0)
	v_mov_b32_e32 v38, v0
	s_set_gpr_idx_off
	s_sub_i32 s41, s6, s49
	s_add_i32 s39, s39, 4
	v_fmac_f32_e32 v37, v38, v17
	s_set_gpr_idx_on s33, gpr_idx(SRC0)
	v_mov_b32_e32 v38, v0
	s_set_gpr_idx_off
	s_sub_i32 s43, s6, s47
	s_add_i32 s41, s41, 5
	v_fmac_f32_e32 v37, v38, v18
	s_set_gpr_idx_on s39, gpr_idx(SRC0)
	v_mov_b32_e32 v38, v0
	s_set_gpr_idx_off
	s_mul_i32 s56, s56, 15
	s_sub_i32 s44, s6, s58
	s_add_i32 s43, s43, 6
	v_fmac_f32_e32 v37, v38, v19
	s_set_gpr_idx_on s41, gpr_idx(SRC0)
	v_mov_b32_e32 v38, v0
	s_set_gpr_idx_off
	s_mul_i32 s54, s54, 15
	;; [unrolled: 7-line block ×8, first 2 shown]
	s_sub_i32 s42, s6, s42
	s_add_i32 s46, s46, 13
	v_fmac_f32_e32 v37, v38, v26
	s_set_gpr_idx_on s48, gpr_idx(SRC0)
	v_mov_b32_e32 v38, v0
	s_set_gpr_idx_off
	s_sub_i32 s40, s6, s40
	s_add_i32 s42, s42, 14
	v_fmac_f32_e32 v37, v38, v27
	s_set_gpr_idx_on s46, gpr_idx(SRC0)
	v_mov_b32_e32 v38, v0
	s_set_gpr_idx_off
	s_add_i32 s40, s40, 15
	v_fmac_f32_e32 v37, v38, v28
	s_set_gpr_idx_on s42, gpr_idx(SRC0)
	v_mov_b32_e32 v38, v0
	s_set_gpr_idx_off
	v_fmac_f32_e32 v37, v38, v29
	s_set_gpr_idx_on s40, gpr_idx(SRC0)
	v_mov_b32_e32 v15, v0
	s_set_gpr_idx_off
	v_fmac_f32_e32 v37, v15, v30
	v_add_f32_e32 v15, v35, v37
	s_mov_b32 s33, 0xbfb8aa3b
	v_mul_f32_e32 v37, 0xbfb8aa3b, v15
	v_fma_f32 v38, v15, s33, -v37
	v_rndne_f32_e32 v39, v37
	v_fmac_f32_e32 v38, 0xb2a5705f, v15
	v_sub_f32_e32 v37, v37, v39
	v_add_f32_e32 v37, v37, v38
	v_cvt_i32_f32_e32 v39, v39
	v_exp_f32_e32 v37, v37
	s_mov_b32 s33, 0x42ce8ed0
	v_cmp_nlt_f32_e32 vcc, s33, v15
	s_mov_b32 s33, 0xc2b17218
	v_ldexp_f32 v37, v37, v39
	v_cndmask_b32_e32 v37, 0, v37, vcc
	v_cmp_ngt_f32_e32 vcc, s33, v15
	v_cndmask_b32_e32 v37, v36, v37, vcc
	v_add_f32_e32 v37, 1.0, v37
	v_div_scale_f32 v38, s[38:39], v37, v37, v15
	v_div_scale_f32 v39, vcc, v15, v37, v15
	s_add_u32 s6, s6, 1
	s_addc_u32 s7, s7, 0
	s_add_u32 s8, s8, 1
	s_addc_u32 s9, s9, 0
	;; [unrolled: 2-line block ×6, first 2 shown]
	v_rcp_f32_e32 v40, v38
	s_add_u32 s18, s18, 1
	s_addc_u32 s19, s19, 0
	s_add_u32 s20, s20, 1
	v_fma_f32 v41, -v38, v40, 1.0
	v_fmac_f32_e32 v40, v41, v40
	v_mul_f32_e32 v41, v39, v40
	v_fma_f32 v42, -v38, v41, v39
	v_fmac_f32_e32 v41, v42, v40
	v_fma_f32 v38, -v38, v41, v39
	v_div_fmas_f32 v38, v38, v40, v41
	s_addc_u32 s21, s21, 0
	s_add_u32 s22, s22, 1
	s_addc_u32 s23, s23, 0
	s_add_u32 s24, s24, 1
	s_addc_u32 s25, s25, 0
	s_add_u32 s26, s26, 1
	s_addc_u32 s27, s27, 0
	s_add_u32 s28, s28, 1
	s_addc_u32 s29, s29, 0
	s_add_u32 s30, s30, 1
	s_addc_u32 s31, s31, 0
	s_add_u32 s34, s34, 1
	s_addc_u32 s35, s35, 0
	s_add_u32 s36, s36, 1
	v_mov_b32_e32 v42, s1
	v_div_fixup_f32 v15, v38, v37, v15
	s_addc_u32 s37, s37, 0
	global_store_dword v[33:34], v15, off
	v_add_co_u32_e32 v33, vcc, s0, v33
	s_cmp_eq_u64 s[2:3], s[6:7]
	v_addc_co_u32_e32 v34, vcc, v34, v42, vcc
	s_cbranch_scc0 .LBB8_5
.LBB8_6:
	s_endpgm
	.section	.rodata,"a",@progbits
	.p2align	6, 0x0
	.amdhsa_kernel _ZL12ssm_conv_f32ILb1ELm128ELm15EEvPKfS1_S1_iiiiPfiiil
		.amdhsa_group_segment_fixed_size 0
		.amdhsa_private_segment_fixed_size 0
		.amdhsa_kernarg_size 72
		.amdhsa_user_sgpr_count 6
		.amdhsa_user_sgpr_private_segment_buffer 1
		.amdhsa_user_sgpr_dispatch_ptr 0
		.amdhsa_user_sgpr_queue_ptr 0
		.amdhsa_user_sgpr_kernarg_segment_ptr 1
		.amdhsa_user_sgpr_dispatch_id 0
		.amdhsa_user_sgpr_flat_scratch_init 0
		.amdhsa_user_sgpr_private_segment_size 0
		.amdhsa_uses_dynamic_stack 0
		.amdhsa_system_sgpr_private_segment_wavefront_offset 0
		.amdhsa_system_sgpr_workgroup_id_x 1
		.amdhsa_system_sgpr_workgroup_id_y 1
		.amdhsa_system_sgpr_workgroup_id_z 0
		.amdhsa_system_sgpr_workgroup_info 0
		.amdhsa_system_vgpr_workitem_id 0
		.amdhsa_next_free_vgpr 43
		.amdhsa_next_free_sgpr 96
		.amdhsa_reserve_vcc 1
		.amdhsa_reserve_flat_scratch 0
		.amdhsa_float_round_mode_32 0
		.amdhsa_float_round_mode_16_64 0
		.amdhsa_float_denorm_mode_32 3
		.amdhsa_float_denorm_mode_16_64 3
		.amdhsa_dx10_clamp 1
		.amdhsa_ieee_mode 1
		.amdhsa_fp16_overflow 0
		.amdhsa_exception_fp_ieee_invalid_op 0
		.amdhsa_exception_fp_denorm_src 0
		.amdhsa_exception_fp_ieee_div_zero 0
		.amdhsa_exception_fp_ieee_overflow 0
		.amdhsa_exception_fp_ieee_underflow 0
		.amdhsa_exception_fp_ieee_inexact 0
		.amdhsa_exception_int_div_zero 0
	.end_amdhsa_kernel
	.section	.text._ZL12ssm_conv_f32ILb1ELm128ELm15EEvPKfS1_S1_iiiiPfiiil,"axG",@progbits,_ZL12ssm_conv_f32ILb1ELm128ELm15EEvPKfS1_S1_iiiiPfiiil,comdat
.Lfunc_end8:
	.size	_ZL12ssm_conv_f32ILb1ELm128ELm15EEvPKfS1_S1_iiiiPfiiil, .Lfunc_end8-_ZL12ssm_conv_f32ILb1ELm128ELm15EEvPKfS1_S1_iiiiPfiiil
                                        ; -- End function
	.set _ZL12ssm_conv_f32ILb1ELm128ELm15EEvPKfS1_S1_iiiiPfiiil.num_vgpr, 43
	.set _ZL12ssm_conv_f32ILb1ELm128ELm15EEvPKfS1_S1_iiiiPfiiil.num_agpr, 0
	.set _ZL12ssm_conv_f32ILb1ELm128ELm15EEvPKfS1_S1_iiiiPfiiil.numbered_sgpr, 96
	.set _ZL12ssm_conv_f32ILb1ELm128ELm15EEvPKfS1_S1_iiiiPfiiil.num_named_barrier, 0
	.set _ZL12ssm_conv_f32ILb1ELm128ELm15EEvPKfS1_S1_iiiiPfiiil.private_seg_size, 0
	.set _ZL12ssm_conv_f32ILb1ELm128ELm15EEvPKfS1_S1_iiiiPfiiil.uses_vcc, 1
	.set _ZL12ssm_conv_f32ILb1ELm128ELm15EEvPKfS1_S1_iiiiPfiiil.uses_flat_scratch, 0
	.set _ZL12ssm_conv_f32ILb1ELm128ELm15EEvPKfS1_S1_iiiiPfiiil.has_dyn_sized_stack, 0
	.set _ZL12ssm_conv_f32ILb1ELm128ELm15EEvPKfS1_S1_iiiiPfiiil.has_recursion, 0
	.set _ZL12ssm_conv_f32ILb1ELm128ELm15EEvPKfS1_S1_iiiiPfiiil.has_indirect_call, 0
	.section	.AMDGPU.csdata,"",@progbits
; Kernel info:
; codeLenInByte = 3144
; TotalNumSgprs: 100
; NumVgprs: 43
; ScratchSize: 0
; MemoryBound: 0
; FloatMode: 240
; IeeeMode: 1
; LDSByteSize: 0 bytes/workgroup (compile time only)
; SGPRBlocks: 12
; VGPRBlocks: 10
; NumSGPRsForWavesPerEU: 100
; NumVGPRsForWavesPerEU: 43
; Occupancy: 5
; WaveLimiterHint : 0
; COMPUTE_PGM_RSRC2:SCRATCH_EN: 0
; COMPUTE_PGM_RSRC2:USER_SGPR: 6
; COMPUTE_PGM_RSRC2:TRAP_HANDLER: 0
; COMPUTE_PGM_RSRC2:TGID_X_EN: 1
; COMPUTE_PGM_RSRC2:TGID_Y_EN: 1
; COMPUTE_PGM_RSRC2:TGID_Z_EN: 0
; COMPUTE_PGM_RSRC2:TIDIG_COMP_CNT: 0
	.section	.text._ZL23ssm_conv_long_token_f32ILb1ELm128ELm15ELl32EEvPKfS1_S1_iiiiPfiiil,"axG",@progbits,_ZL23ssm_conv_long_token_f32ILb1ELm128ELm15ELl32EEvPKfS1_S1_iiiiPfiiil,comdat
	.globl	_ZL23ssm_conv_long_token_f32ILb1ELm128ELm15ELl32EEvPKfS1_S1_iiiiPfiiil ; -- Begin function _ZL23ssm_conv_long_token_f32ILb1ELm128ELm15ELl32EEvPKfS1_S1_iiiiPfiiil
	.p2align	8
	.type	_ZL23ssm_conv_long_token_f32ILb1ELm128ELm15ELl32EEvPKfS1_S1_iiiiPfiiil,@function
_ZL23ssm_conv_long_token_f32ILb1ELm128ELm15ELl32EEvPKfS1_S1_iiiiPfiiil: ; @_ZL23ssm_conv_long_token_f32ILb1ELm128ELm15ELl32EEvPKfS1_S1_iiiiPfiiil
; %bb.0:
	s_load_dwordx2 s[12:13], s[4:5], 0x0
	s_load_dwordx4 s[0:3], s[4:5], 0x18
	s_mov_b32 s10, s7
	v_mul_u32_u24_e32 v1, 0x591, v0
	v_lshrrev_b32_e32 v4, 16, v1
	v_mul_lo_u16_e32 v1, 46, v4
	s_waitcnt lgkmcnt(0)
	s_mul_i32 s2, s2, s6
	s_ashr_i32 s7, s2, 31
	s_add_u32 s2, s12, s2
	s_addc_u32 s7, s13, s7
	s_ashr_i32 s11, s10, 31
	s_lshl_b64 s[12:13], s[10:11], 7
	s_ashr_i32 s9, s1, 31
	s_mul_i32 s9, s12, s9
	s_mul_hi_u32 s14, s12, s1
	s_lshr_b64 s[10:11], s[10:11], 25
	s_add_i32 s9, s14, s9
	s_mul_i32 s10, s10, s1
	s_add_i32 s9, s9, s10
	s_mul_i32 s10, s12, s1
	s_add_u32 s2, s2, s10
	s_addc_u32 s7, s7, s9
	s_ashr_i32 s9, s8, 31
	s_lshl_b64 s[14:15], s[8:9], 5
	s_ashr_i32 s10, s0, 31
	s_mul_i32 s10, s14, s10
	s_mul_hi_u32 s11, s14, s0
	s_lshr_b64 s[8:9], s[8:9], 27
	s_add_i32 s10, s11, s10
	s_mul_i32 s8, s8, s0
	s_add_i32 s10, s10, s8
	s_mul_i32 s0, s14, s0
	s_add_u32 s2, s2, s0
	s_addc_u32 s7, s7, s10
	s_ashr_i32 s20, s1, 2
	v_sub_u16_e32 v1, v0, v1
	v_mad_u64_u32 v[2:3], s[0:1], s20, v4, v[1:2]
	v_mov_b32_e32 v5, s7
	v_mov_b32_e32 v6, s7
	v_ashrrev_i32_e32 v3, 31, v2
	v_lshlrev_b64 v[2:3], 2, v[2:3]
	s_movk_i32 s8, 0xb8
	v_add_co_u32_e32 v2, vcc, s2, v2
	v_addc_co_u32_e32 v3, vcc, v5, v3, vcc
	global_load_dword v2, v[2:3], off
	v_mul_u32_u24_e32 v3, 0xb8, v4
	v_lshlrev_b32_e32 v5, 2, v1
	v_add3_u32 v3, 0, v3, v5
	v_or_b32_e32 v1, 0xffffff80, v1
	s_movk_i32 s9, 0x80
	s_waitcnt vmcnt(0)
	ds_write_b32 v3, v2
	v_lshrrev_b16_e32 v2, 1, v1
	v_and_b32_e32 v2, 0x7f, v2
	v_mul_lo_u16_e32 v2, 0xb3, v2
	v_lshrrev_b16_e32 v2, 12, v2
	v_add_u32_e32 v4, v4, v2
	v_mul_lo_u16_e32 v2, 46, v2
	v_sub_u16_e32 v5, v1, v2
	v_and_b32_e32 v1, 0xff, v5
	v_mad_u64_u32 v[2:3], s[0:1], v4, s20, v[1:2]
	v_lshlrev_b32_e32 v1, 2, v1
	v_ashrrev_i32_e32 v3, 31, v2
	v_lshlrev_b64 v[2:3], 2, v[2:3]
	v_add_co_u32_e32 v2, vcc, s2, v2
	v_addc_co_u32_e32 v3, vcc, v6, v3, vcc
	global_load_dword v2, v[2:3], off
	v_mul_u32_u24_e32 v3, 0xb8, v4
	v_add3_u32 v1, 0, v3, v1
	s_waitcnt vmcnt(0)
	ds_write_b32 v1, v2
	v_or_b32_e32 v1, 0xffffff80, v5
	v_lshrrev_b16_e32 v2, 1, v1
	v_and_b32_e32 v2, 0x7f, v2
	v_mul_lo_u16_e32 v2, 0xb3, v2
	v_lshrrev_b16_e32 v2, 12, v2
	v_add_u32_e32 v4, v4, v2
	v_mul_lo_u16_e32 v2, 46, v2
	v_sub_u16_e32 v5, v1, v2
	v_and_b32_e32 v1, 0xff, v5
	v_mad_u64_u32 v[2:3], s[0:1], v4, s20, v[1:2]
	v_lshlrev_b32_e32 v1, 2, v1
	v_ashrrev_i32_e32 v3, 31, v2
	v_lshlrev_b64 v[2:3], 2, v[2:3]
	v_add_co_u32_e32 v2, vcc, s2, v2
	v_addc_co_u32_e32 v3, vcc, v6, v3, vcc
	global_load_dword v2, v[2:3], off
	v_mul_u32_u24_e32 v3, 0xb8, v4
	v_add3_u32 v1, 0, v3, v1
	s_waitcnt vmcnt(0)
	ds_write_b32 v1, v2
	v_or_b32_e32 v1, 0xffffff80, v5
	;; [unrolled: 20-line block ×5, first 2 shown]
	v_lshrrev_b16_e32 v2, 1, v1
	v_and_b32_e32 v2, 0x7f, v2
	v_mul_lo_u16_e32 v2, 0xb3, v2
	v_lshrrev_b16_e32 v2, 12, v2
	v_add_u32_e32 v4, v4, v2
	v_mul_lo_u16_e32 v2, 46, v2
	v_sub_u16_e32 v5, v1, v2
	v_and_b32_e32 v1, 0xff, v5
	v_mad_u64_u32 v[2:3], s[0:1], v4, s20, v[1:2]
	v_lshlrev_b32_e32 v1, 2, v1
	v_ashrrev_i32_e32 v3, 31, v2
	v_lshlrev_b64 v[2:3], 2, v[2:3]
	v_add_co_u32_e32 v2, vcc, s2, v2
	v_addc_co_u32_e32 v3, vcc, v6, v3, vcc
	global_load_dword v2, v[2:3], off
	v_mul_lo_u32 v3, v4, s8
	v_add3_u32 v1, 0, v3, v1
	s_waitcnt vmcnt(0)
	ds_write_b32 v1, v2
	v_or_b32_e32 v1, 0xffffff80, v5
	v_lshrrev_b16_e32 v2, 1, v1
	v_and_b32_e32 v2, 0x7f, v2
	v_mul_lo_u16_e32 v2, 0xb3, v2
	v_lshrrev_b16_e32 v2, 12, v2
	v_add_u32_e32 v4, v4, v2
	v_mul_lo_u16_e32 v2, 46, v2
	v_sub_u16_e32 v5, v1, v2
	v_and_b32_e32 v1, 0xff, v5
	v_mad_u64_u32 v[2:3], s[0:1], v4, s20, v[1:2]
	v_lshlrev_b32_e32 v1, 2, v1
	v_ashrrev_i32_e32 v3, 31, v2
	v_lshlrev_b64 v[2:3], 2, v[2:3]
	v_add_co_u32_e32 v2, vcc, s2, v2
	v_addc_co_u32_e32 v3, vcc, v6, v3, vcc
	global_load_dword v2, v[2:3], off
	v_mul_lo_u32 v3, v4, s8
	v_add3_u32 v1, 0, v3, v1
	s_waitcnt vmcnt(0)
	ds_write_b32 v1, v2
	v_or_b32_e32 v1, 0xffffff80, v5
	;; [unrolled: 20-line block ×21, first 2 shown]
	v_lshrrev_b16_e32 v2, 1, v1
	v_and_b32_e32 v2, 0x7f, v2
	v_mul_lo_u16_e32 v2, 0xb3, v2
	v_lshrrev_b16_e32 v3, 12, v2
	v_add_u32_e32 v2, v4, v3
	v_mul_lo_u16_e32 v3, 46, v3
	v_sub_u16_e32 v1, v1, v3
	v_and_b32_e32 v1, 0xff, v1
	v_cmp_gt_u32_e32 vcc, s9, v2
	s_and_saveexec_b64 s[0:1], vcc
	s_cbranch_execz .LBB9_2
; %bb.1:
	v_mad_u64_u32 v[3:4], s[10:11], v2, s20, v[1:2]
	v_mov_b32_e32 v5, s7
	v_ashrrev_i32_e32 v4, 31, v3
	v_lshlrev_b64 v[3:4], 2, v[3:4]
	v_add_co_u32_e32 v3, vcc, s2, v3
	v_addc_co_u32_e32 v4, vcc, v5, v4, vcc
	global_load_dword v3, v[3:4], off
	v_mul_lo_u32 v4, v2, s8
	v_lshlrev_b32_e32 v5, 2, v1
	v_add3_u32 v4, 0, v4, v5
	s_waitcnt vmcnt(0)
	ds_write_b32 v4, v3
.LBB9_2:
	s_or_b64 exec, exec, s[0:1]
	v_or_b32_e32 v1, 0xffffff80, v1
	v_lshrrev_b16_e32 v3, 1, v1
	v_and_b32_e32 v3, 0x7f, v3
	v_mul_lo_u16_e32 v3, 0xb3, v3
	v_lshrrev_b16_e32 v3, 12, v3
	v_add_u32_e32 v2, v2, v3
	v_mul_lo_u16_e32 v3, 46, v3
	v_sub_u16_e32 v1, v1, v3
	v_and_b32_e32 v1, 0xff, v1
	v_cmp_gt_u32_e32 vcc, s9, v2
	s_and_saveexec_b64 s[0:1], vcc
	s_cbranch_execz .LBB9_4
; %bb.3:
	v_mad_u64_u32 v[3:4], s[8:9], v2, s20, v[1:2]
	v_mov_b32_e32 v5, s7
	s_movk_i32 s8, 0xb8
	v_ashrrev_i32_e32 v4, 31, v3
	v_lshlrev_b64 v[3:4], 2, v[3:4]
	v_add_co_u32_e32 v3, vcc, s2, v3
	v_addc_co_u32_e32 v4, vcc, v5, v4, vcc
	global_load_dword v3, v[3:4], off
	v_mul_lo_u32 v4, v2, s8
	v_lshlrev_b32_e32 v5, 2, v1
	v_add3_u32 v4, 0, v4, v5
	s_waitcnt vmcnt(0)
	ds_write_b32 v4, v3
.LBB9_4:
	s_or_b64 exec, exec, s[0:1]
	v_or_b32_e32 v1, 0xffffff80, v1
	v_lshrrev_b16_e32 v3, 1, v1
	v_and_b32_e32 v3, 0x7f, v3
	v_mul_lo_u16_e32 v3, 0xb3, v3
	v_lshrrev_b16_e32 v3, 12, v3
	v_add_u32_e32 v2, v2, v3
	v_mul_lo_u16_e32 v3, 46, v3
	v_sub_u16_e32 v1, v1, v3
	s_movk_i32 s8, 0x80
	v_and_b32_e32 v1, 0xff, v1
	v_cmp_gt_u32_e32 vcc, s8, v2
	s_and_saveexec_b64 s[0:1], vcc
	s_cbranch_execz .LBB9_6
; %bb.5:
	v_mad_u64_u32 v[3:4], s[10:11], v2, s20, v[1:2]
	v_mov_b32_e32 v5, s7
	s_movk_i32 s9, 0xb8
	v_ashrrev_i32_e32 v4, 31, v3
	v_lshlrev_b64 v[3:4], 2, v[3:4]
	v_add_co_u32_e32 v3, vcc, s2, v3
	v_addc_co_u32_e32 v4, vcc, v5, v4, vcc
	global_load_dword v3, v[3:4], off
	v_mul_lo_u32 v4, v2, s9
	v_lshlrev_b32_e32 v5, 2, v1
	v_add3_u32 v4, 0, v4, v5
	s_waitcnt vmcnt(0)
	ds_write_b32 v4, v3
.LBB9_6:
	s_or_b64 exec, exec, s[0:1]
	v_or_b32_e32 v1, 0xffffff80, v1
	v_lshrrev_b16_e32 v3, 1, v1
	v_and_b32_e32 v3, 0x7f, v3
	v_mul_lo_u16_e32 v3, 0xb3, v3
	v_lshrrev_b16_e32 v3, 12, v3
	v_add_u32_e32 v2, v2, v3
	v_mul_lo_u16_e32 v3, 46, v3
	v_sub_u16_e32 v1, v1, v3
	v_and_b32_e32 v1, 0xff, v1
	v_cmp_gt_u32_e32 vcc, s8, v2
	s_and_saveexec_b64 s[0:1], vcc
	s_cbranch_execz .LBB9_8
; %bb.7:
	v_mad_u64_u32 v[3:4], s[8:9], v2, s20, v[1:2]
	v_mov_b32_e32 v5, s7
	s_movk_i32 s8, 0xb8
	v_ashrrev_i32_e32 v4, 31, v3
	v_lshlrev_b64 v[3:4], 2, v[3:4]
	v_add_co_u32_e32 v3, vcc, s2, v3
	v_addc_co_u32_e32 v4, vcc, v5, v4, vcc
	global_load_dword v3, v[3:4], off
	v_mul_lo_u32 v4, v2, s8
	v_lshlrev_b32_e32 v5, 2, v1
	v_add3_u32 v4, 0, v4, v5
	s_waitcnt vmcnt(0)
	ds_write_b32 v4, v3
.LBB9_8:
	s_or_b64 exec, exec, s[0:1]
	v_or_b32_e32 v1, 0xffffff80, v1
	v_lshrrev_b16_e32 v3, 1, v1
	v_and_b32_e32 v3, 0x7f, v3
	v_mul_lo_u16_e32 v3, 0xb3, v3
	v_lshrrev_b16_e32 v3, 12, v3
	v_add_u32_e32 v2, v2, v3
	v_mul_lo_u16_e32 v3, 46, v3
	v_sub_u16_e32 v1, v1, v3
	s_movk_i32 s8, 0x80
	v_and_b32_e32 v1, 0xff, v1
	v_cmp_gt_u32_e32 vcc, s8, v2
	s_and_saveexec_b64 s[0:1], vcc
	s_cbranch_execz .LBB9_10
; %bb.9:
	v_mad_u64_u32 v[3:4], s[10:11], v2, s20, v[1:2]
	v_mov_b32_e32 v5, s7
	s_movk_i32 s9, 0xb8
	v_ashrrev_i32_e32 v4, 31, v3
	v_lshlrev_b64 v[3:4], 2, v[3:4]
	v_add_co_u32_e32 v3, vcc, s2, v3
	v_addc_co_u32_e32 v4, vcc, v5, v4, vcc
	global_load_dword v3, v[3:4], off
	v_mul_lo_u32 v4, v2, s9
	v_lshlrev_b32_e32 v5, 2, v1
	v_add3_u32 v4, 0, v4, v5
	s_waitcnt vmcnt(0)
	ds_write_b32 v4, v3
.LBB9_10:
	;; [unrolled: 57-line block ×5, first 2 shown]
	s_or_b64 exec, exec, s[0:1]
	v_or_b32_e32 v1, 0xffffff80, v1
	v_lshrrev_b16_e32 v3, 1, v1
	v_and_b32_e32 v3, 0x7f, v3
	v_mul_lo_u16_e32 v3, 0xb3, v3
	v_lshrrev_b16_e32 v3, 12, v3
	v_add_u32_e32 v2, v2, v3
	v_mul_lo_u16_e32 v3, 46, v3
	v_sub_u16_e32 v1, v1, v3
	v_and_b32_e32 v1, 0xff, v1
	v_cmp_gt_u32_e32 vcc, s8, v2
	s_and_saveexec_b64 s[0:1], vcc
	s_cbranch_execz .LBB9_24
; %bb.23:
	v_mad_u64_u32 v[3:4], s[8:9], v2, s20, v[1:2]
	v_mov_b32_e32 v5, s7
	s_movk_i32 s8, 0xb8
	v_ashrrev_i32_e32 v4, 31, v3
	v_lshlrev_b64 v[3:4], 2, v[3:4]
	v_add_co_u32_e32 v3, vcc, s2, v3
	v_addc_co_u32_e32 v4, vcc, v5, v4, vcc
	global_load_dword v3, v[3:4], off
	v_mul_lo_u32 v4, v2, s8
	v_lshlrev_b32_e32 v5, 2, v1
	v_add3_u32 v4, 0, v4, v5
	s_waitcnt vmcnt(0)
	ds_write_b32 v4, v3
.LBB9_24:
	s_or_b64 exec, exec, s[0:1]
	s_load_dwordx4 s[8:11], s[4:5], 0x8
	s_load_dwordx2 s[0:1], s[4:5], 0x28
	s_movk_i32 s16, 0x380
	v_cmp_gt_u32_e32 vcc, s16, v0
	s_and_saveexec_b64 s[16:17], vcc
	s_cbranch_execz .LBB9_45
; %bb.25:
	v_or_b32_e32 v1, 0xffffff80, v1
	v_lshrrev_b16_e32 v3, 1, v1
	v_and_b32_e32 v3, 0x7f, v3
	v_mul_lo_u16_e32 v3, 0xb3, v3
	v_lshrrev_b16_e32 v3, 12, v3
	v_add_u32_e32 v2, v2, v3
	v_mul_lo_u16_e32 v3, 46, v3
	v_sub_u16_e32 v1, v1, v3
	s_movk_i32 s18, 0x80
	v_and_b32_e32 v1, 0xff, v1
	v_cmp_gt_u32_e32 vcc, s18, v2
	s_and_saveexec_b64 s[18:19], vcc
	s_cbranch_execz .LBB9_27
; %bb.26:
	v_mad_u64_u32 v[3:4], s[22:23], v2, s20, v[1:2]
	v_mov_b32_e32 v5, s7
	s_movk_i32 s21, 0xb8
	v_ashrrev_i32_e32 v4, 31, v3
	v_lshlrev_b64 v[3:4], 2, v[3:4]
	v_add_co_u32_e32 v3, vcc, s2, v3
	v_addc_co_u32_e32 v4, vcc, v5, v4, vcc
	global_load_dword v3, v[3:4], off
	v_mul_lo_u32 v4, v2, s21
	v_lshlrev_b32_e32 v5, 2, v1
	v_add3_u32 v4, 0, v4, v5
	s_waitcnt vmcnt(0)
	ds_write_b32 v4, v3
.LBB9_27:
	s_or_b64 exec, exec, s[18:19]
	s_movk_i32 s18, 0x300
	v_cmp_gt_u32_e32 vcc, s18, v0
	s_and_b64 exec, exec, vcc
	s_cbranch_execz .LBB9_45
; %bb.28:
	v_or_b32_e32 v1, 0xffffff80, v1
	v_lshrrev_b16_e32 v3, 1, v1
	v_and_b32_e32 v3, 0x7f, v3
	v_mul_lo_u16_e32 v3, 0xb3, v3
	v_lshrrev_b16_e32 v3, 12, v3
	v_add_u32_e32 v2, v2, v3
	v_mul_lo_u16_e32 v3, 46, v3
	v_sub_u16_e32 v1, v1, v3
	s_movk_i32 s18, 0x80
	v_and_b32_e32 v1, 0xff, v1
	v_cmp_gt_u32_e32 vcc, s18, v2
	s_and_saveexec_b64 s[18:19], vcc
	s_cbranch_execz .LBB9_30
; %bb.29:
	v_mad_u64_u32 v[3:4], s[22:23], v2, s20, v[1:2]
	v_mov_b32_e32 v5, s7
	s_movk_i32 s21, 0xb8
	v_ashrrev_i32_e32 v4, 31, v3
	v_lshlrev_b64 v[3:4], 2, v[3:4]
	v_add_co_u32_e32 v3, vcc, s2, v3
	v_addc_co_u32_e32 v4, vcc, v5, v4, vcc
	global_load_dword v3, v[3:4], off
	v_mul_lo_u32 v4, v2, s21
	v_lshlrev_b32_e32 v5, 2, v1
	v_add3_u32 v4, 0, v4, v5
	s_waitcnt vmcnt(0)
	ds_write_b32 v4, v3
.LBB9_30:
	s_or_b64 exec, exec, s[18:19]
	s_movk_i32 s18, 0x280
	v_cmp_gt_u32_e32 vcc, s18, v0
	s_and_b64 exec, exec, vcc
	;; [unrolled: 34-line block ×5, first 2 shown]
	s_cbranch_execz .LBB9_45
; %bb.40:
	v_or_b32_e32 v1, 0xffffff80, v1
	v_lshrrev_b16_e32 v3, 1, v1
	v_and_b32_e32 v3, 0x7f, v3
	v_mul_lo_u16_e32 v3, 0xb3, v3
	v_lshrrev_b16_e32 v3, 12, v3
	v_add_u32_e32 v2, v2, v3
	v_mul_lo_u16_e32 v3, 46, v3
	v_sub_u16_e32 v1, v1, v3
	s_movk_i32 s21, 0x80
	v_and_b32_e32 v1, 0xff, v1
	v_cmp_gt_u32_e32 vcc, s21, v2
	s_and_saveexec_b64 s[18:19], vcc
	s_cbranch_execz .LBB9_42
; %bb.41:
	v_mad_u64_u32 v[3:4], s[22:23], v2, s20, v[1:2]
	v_mov_b32_e32 v5, s7
	s_movk_i32 s22, 0xb8
	v_ashrrev_i32_e32 v4, 31, v3
	v_lshlrev_b64 v[3:4], 2, v[3:4]
	v_add_co_u32_e32 v3, vcc, s2, v3
	v_addc_co_u32_e32 v4, vcc, v5, v4, vcc
	global_load_dword v3, v[3:4], off
	v_mul_lo_u32 v4, v2, s22
	v_lshlrev_b32_e32 v5, 2, v1
	v_add3_u32 v4, 0, v4, v5
	s_waitcnt vmcnt(0)
	ds_write_b32 v4, v3
.LBB9_42:
	s_or_b64 exec, exec, s[18:19]
	v_cmp_gt_u32_e32 vcc, s21, v0
	s_and_b64 exec, exec, vcc
	s_cbranch_execz .LBB9_45
; %bb.43:
	v_or_b32_e32 v3, 0x80, v1
	v_lshrrev_b16_e32 v1, 1, v3
	v_mul_lo_u16_e32 v1, 0xb3, v1
	v_lshrrev_b16_e32 v4, 12, v1
	s_movk_i32 s18, 0x80
	v_add_u32_e32 v1, v2, v4
	v_cmp_gt_u32_e32 vcc, s18, v1
	s_and_b64 exec, exec, vcc
	s_cbranch_execz .LBB9_45
; %bb.44:
	v_mul_lo_u16_e32 v2, 46, v4
	v_sub_u16_e32 v2, v3, v2
	v_and_b32_e32 v2, 0xff, v2
	v_mad_u64_u32 v[3:4], s[18:19], v1, s20, v[2:3]
	v_mov_b32_e32 v5, s7
	v_lshlrev_b32_e32 v2, 2, v2
	v_ashrrev_i32_e32 v4, 31, v3
	v_lshlrev_b64 v[3:4], 2, v[3:4]
	v_add_co_u32_e32 v3, vcc, s2, v3
	v_addc_co_u32_e32 v4, vcc, v5, v4, vcc
	global_load_dword v3, v[3:4], off
	s_movk_i32 s2, 0xb8
	v_mul_lo_u32 v1, v1, s2
	v_add3_u32 v1, 0, v1, v2
	s_waitcnt vmcnt(0)
	ds_write_b32 v1, v3
.LBB9_45:
	s_or_b64 exec, exec, s[16:17]
	s_ashr_i32 s2, s3, 31
	s_mul_hi_u32 s7, s12, s3
	s_mul_i32 s2, s12, s2
	s_add_i32 s2, s7, s2
	s_mul_i32 s7, s13, s3
	s_add_i32 s2, s2, s7
	s_mul_i32 s7, s12, s3
	s_waitcnt lgkmcnt(0)
	s_add_u32 s7, s8, s7
	s_addc_u32 s2, s9, s2
	s_ashr_i32 s3, s3, 2
	v_mul_lo_u32 v1, s3, v0
	v_mov_b32_e32 v3, s2
	s_barrier
	v_ashrrev_i32_e32 v2, 31, v1
	v_lshlrev_b64 v[1:2], 2, v[1:2]
	v_add_co_u32_e32 v16, vcc, s7, v1
	v_addc_co_u32_e32 v17, vcc, v3, v2, vcc
	global_load_dwordx3 v[13:15], v[16:17], off offset:48
	global_load_dwordx4 v[1:4], v[16:17], off offset:32
	global_load_dwordx4 v[5:8], v[16:17], off offset:16
	global_load_dwordx4 v[9:12], v[16:17], off
	s_cmp_eq_u64 s[10:11], 0
	v_lshlrev_b32_e32 v16, 2, v0
	s_cbranch_scc1 .LBB9_47
; %bb.46:
	s_lshl_b64 s[2:3], s[12:13], 2
	s_add_u32 s2, s10, s2
	s_addc_u32 s3, s11, s3
	global_load_dword v20, v16, s[2:3]
	s_branch .LBB9_48
.LBB9_47:
	v_mov_b32_e32 v20, 0
.LBB9_48:
	s_load_dwordx2 s[2:3], s[4:5], 0x40
	s_waitcnt lgkmcnt(0)
	s_sub_u32 s2, s2, s14
	s_subb_u32 s3, s3, s15
	v_cmp_lt_i64_e64 s[8:9], s[2:3], 1
	s_and_b64 vcc, exec, s[8:9]
	s_cbranch_vccnz .LBB9_51
; %bb.49:
	s_load_dwordx4 s[8:11], s[4:5], 0x30
	v_mov_b32_e32 v21, 0x7f800000
	s_waitcnt lgkmcnt(0)
	s_ashr_i32 s4, s9, 31
	s_mul_hi_u32 s5, s14, s9
	s_mul_i32 s4, s14, s4
	s_mul_i32 s10, s10, s6
	;; [unrolled: 1-line block ×3, first 2 shown]
	s_add_i32 s4, s5, s4
	s_add_i32 s15, s4, s6
	s_ashr_i32 s4, s8, 31
	s_mul_hi_u32 s5, s12, s8
	s_mul_i32 s4, s12, s4
	s_add_i32 s4, s5, s4
	s_mul_i32 s5, s13, s8
	s_add_i32 s13, s4, s5
	s_ashr_i32 s4, s9, 2
	s_movk_i32 s5, 0xb8
	v_cmp_lt_u64_e64 s[6:7], s[2:3], 32
	s_ashr_i32 s11, s10, 31
	v_mad_u32_u24 v0, v0, s5, 0
	s_ashr_i32 s5, s4, 31
	s_mul_i32 s14, s14, s9
	s_mul_i32 s8, s12, s8
	s_and_b64 s[6:7], s[6:7], exec
	s_cselect_b32 s3, s3, 0
	s_cselect_b32 s2, s2, 32
	s_add_u32 s6, s8, s14
	s_addc_u32 s7, s13, s15
	s_add_u32 s0, s0, s10
	s_addc_u32 s1, s1, s11
	ds_read_b32 v18, v0
	s_add_u32 s0, s0, s6
	s_addc_u32 s1, s1, s7
	v_mov_b32_e32 v17, s1
	v_add_co_u32_e32 v16, vcc, s0, v16
	s_lshl_b64 s[0:1], s[4:5], 2
	v_addc_co_u32_e32 v17, vcc, 0, v17, vcc
	s_mov_b32 s4, 0xbfb8aa3b
	s_mov_b32 s5, 0x42ce8ed0
	;; [unrolled: 1-line block ×3, first 2 shown]
	v_mov_b32_e32 v22, s1
	s_waitcnt vmcnt(0)
.LBB9_50:                               ; =>This Inner Loop Header: Depth=1
	s_waitcnt lgkmcnt(0)
	v_fma_f32 v29, v9, v18, 0
	ds_read2_b32 v[18:19], v0 offset0:1 offset1:2
	ds_read2_b32 v[23:24], v0 offset0:3 offset1:4
	;; [unrolled: 1-line block ×4, first 2 shown]
	s_add_u32 s2, s2, -1
	s_waitcnt lgkmcnt(3)
	v_fmac_f32_e32 v29, v10, v18
	v_fmac_f32_e32 v29, v11, v19
	s_waitcnt lgkmcnt(2)
	v_fmac_f32_e32 v29, v12, v23
	v_fmac_f32_e32 v29, v5, v24
	s_waitcnt lgkmcnt(1)
	v_fmac_f32_e32 v29, v6, v25
	ds_read2_b32 v[23:24], v0 offset0:9 offset1:10
	v_fmac_f32_e32 v29, v7, v26
	s_waitcnt lgkmcnt(1)
	v_fmac_f32_e32 v29, v8, v27
	v_fmac_f32_e32 v29, v1, v28
	ds_read2_b32 v[25:26], v0 offset0:11 offset1:12
	ds_read2_b32 v[27:28], v0 offset0:13 offset1:14
	s_waitcnt lgkmcnt(2)
	v_fmac_f32_e32 v29, v2, v23
	v_fmac_f32_e32 v29, v3, v24
	s_addc_u32 s3, s3, -1
	s_waitcnt lgkmcnt(1)
	v_fmac_f32_e32 v29, v4, v25
	v_fmac_f32_e32 v29, v13, v26
	s_waitcnt lgkmcnt(0)
	v_fmac_f32_e32 v29, v14, v27
	v_fmac_f32_e32 v29, v15, v28
	v_add_f32_e32 v19, v20, v29
	v_mul_f32_e32 v23, 0xbfb8aa3b, v19
	v_fma_f32 v24, v19, s4, -v23
	v_rndne_f32_e32 v25, v23
	v_fmac_f32_e32 v24, 0xb2a5705f, v19
	v_sub_f32_e32 v23, v23, v25
	v_add_f32_e32 v23, v23, v24
	v_cvt_i32_f32_e32 v25, v25
	v_exp_f32_e32 v23, v23
	v_cmp_nlt_f32_e32 vcc, s5, v19
	v_add_u32_e32 v0, 4, v0
	s_cmp_lg_u64 s[2:3], 0
	v_ldexp_f32 v23, v23, v25
	v_cndmask_b32_e32 v23, 0, v23, vcc
	v_cmp_ngt_f32_e32 vcc, s6, v19
	v_cndmask_b32_e32 v23, v21, v23, vcc
	v_add_f32_e32 v23, 1.0, v23
	v_div_scale_f32 v24, s[8:9], v23, v23, v19
	v_rcp_f32_e32 v25, v24
	v_fma_f32 v26, -v24, v25, 1.0
	v_fmac_f32_e32 v25, v26, v25
	v_div_scale_f32 v26, vcc, v19, v23, v19
	v_mul_f32_e32 v27, v26, v25
	v_fma_f32 v28, -v24, v27, v26
	v_fmac_f32_e32 v27, v28, v25
	v_fma_f32 v24, -v24, v27, v26
	v_div_fmas_f32 v24, v24, v25, v27
	v_div_fixup_f32 v19, v24, v23, v19
	global_store_dword v[16:17], v19, off
	v_add_co_u32_e32 v16, vcc, s0, v16
	v_addc_co_u32_e32 v17, vcc, v17, v22, vcc
	s_cbranch_scc1 .LBB9_50
.LBB9_51:
	s_endpgm
	.section	.rodata,"a",@progbits
	.p2align	6, 0x0
	.amdhsa_kernel _ZL23ssm_conv_long_token_f32ILb1ELm128ELm15ELl32EEvPKfS1_S1_iiiiPfiiil
		.amdhsa_group_segment_fixed_size 0
		.amdhsa_private_segment_fixed_size 0
		.amdhsa_kernarg_size 72
		.amdhsa_user_sgpr_count 6
		.amdhsa_user_sgpr_private_segment_buffer 1
		.amdhsa_user_sgpr_dispatch_ptr 0
		.amdhsa_user_sgpr_queue_ptr 0
		.amdhsa_user_sgpr_kernarg_segment_ptr 1
		.amdhsa_user_sgpr_dispatch_id 0
		.amdhsa_user_sgpr_flat_scratch_init 0
		.amdhsa_user_sgpr_private_segment_size 0
		.amdhsa_uses_dynamic_stack 0
		.amdhsa_system_sgpr_private_segment_wavefront_offset 0
		.amdhsa_system_sgpr_workgroup_id_x 1
		.amdhsa_system_sgpr_workgroup_id_y 1
		.amdhsa_system_sgpr_workgroup_id_z 1
		.amdhsa_system_sgpr_workgroup_info 0
		.amdhsa_system_vgpr_workitem_id 0
		.amdhsa_next_free_vgpr 30
		.amdhsa_next_free_sgpr 24
		.amdhsa_reserve_vcc 1
		.amdhsa_reserve_flat_scratch 0
		.amdhsa_float_round_mode_32 0
		.amdhsa_float_round_mode_16_64 0
		.amdhsa_float_denorm_mode_32 3
		.amdhsa_float_denorm_mode_16_64 3
		.amdhsa_dx10_clamp 1
		.amdhsa_ieee_mode 1
		.amdhsa_fp16_overflow 0
		.amdhsa_exception_fp_ieee_invalid_op 0
		.amdhsa_exception_fp_denorm_src 0
		.amdhsa_exception_fp_ieee_div_zero 0
		.amdhsa_exception_fp_ieee_overflow 0
		.amdhsa_exception_fp_ieee_underflow 0
		.amdhsa_exception_fp_ieee_inexact 0
		.amdhsa_exception_int_div_zero 0
	.end_amdhsa_kernel
	.section	.text._ZL23ssm_conv_long_token_f32ILb1ELm128ELm15ELl32EEvPKfS1_S1_iiiiPfiiil,"axG",@progbits,_ZL23ssm_conv_long_token_f32ILb1ELm128ELm15ELl32EEvPKfS1_S1_iiiiPfiiil,comdat
.Lfunc_end9:
	.size	_ZL23ssm_conv_long_token_f32ILb1ELm128ELm15ELl32EEvPKfS1_S1_iiiiPfiiil, .Lfunc_end9-_ZL23ssm_conv_long_token_f32ILb1ELm128ELm15ELl32EEvPKfS1_S1_iiiiPfiiil
                                        ; -- End function
	.set _ZL23ssm_conv_long_token_f32ILb1ELm128ELm15ELl32EEvPKfS1_S1_iiiiPfiiil.num_vgpr, 30
	.set _ZL23ssm_conv_long_token_f32ILb1ELm128ELm15ELl32EEvPKfS1_S1_iiiiPfiiil.num_agpr, 0
	.set _ZL23ssm_conv_long_token_f32ILb1ELm128ELm15ELl32EEvPKfS1_S1_iiiiPfiiil.numbered_sgpr, 24
	.set _ZL23ssm_conv_long_token_f32ILb1ELm128ELm15ELl32EEvPKfS1_S1_iiiiPfiiil.num_named_barrier, 0
	.set _ZL23ssm_conv_long_token_f32ILb1ELm128ELm15ELl32EEvPKfS1_S1_iiiiPfiiil.private_seg_size, 0
	.set _ZL23ssm_conv_long_token_f32ILb1ELm128ELm15ELl32EEvPKfS1_S1_iiiiPfiiil.uses_vcc, 1
	.set _ZL23ssm_conv_long_token_f32ILb1ELm128ELm15ELl32EEvPKfS1_S1_iiiiPfiiil.uses_flat_scratch, 0
	.set _ZL23ssm_conv_long_token_f32ILb1ELm128ELm15ELl32EEvPKfS1_S1_iiiiPfiiil.has_dyn_sized_stack, 0
	.set _ZL23ssm_conv_long_token_f32ILb1ELm128ELm15ELl32EEvPKfS1_S1_iiiiPfiiil.has_recursion, 0
	.set _ZL23ssm_conv_long_token_f32ILb1ELm128ELm15ELl32EEvPKfS1_S1_iiiiPfiiil.has_indirect_call, 0
	.section	.AMDGPU.csdata,"",@progbits
; Kernel info:
; codeLenInByte = 6992
; TotalNumSgprs: 28
; NumVgprs: 30
; ScratchSize: 0
; MemoryBound: 0
; FloatMode: 240
; IeeeMode: 1
; LDSByteSize: 0 bytes/workgroup (compile time only)
; SGPRBlocks: 3
; VGPRBlocks: 7
; NumSGPRsForWavesPerEU: 28
; NumVGPRsForWavesPerEU: 30
; Occupancy: 8
; WaveLimiterHint : 0
; COMPUTE_PGM_RSRC2:SCRATCH_EN: 0
; COMPUTE_PGM_RSRC2:USER_SGPR: 6
; COMPUTE_PGM_RSRC2:TRAP_HANDLER: 0
; COMPUTE_PGM_RSRC2:TGID_X_EN: 1
; COMPUTE_PGM_RSRC2:TGID_Y_EN: 1
; COMPUTE_PGM_RSRC2:TGID_Z_EN: 1
; COMPUTE_PGM_RSRC2:TIDIG_COMP_CNT: 0
	.section	.text._ZL12ssm_conv_f32ILb0ELm128ELm3EEvPKfS1_S1_iiiiPfiiil,"axG",@progbits,_ZL12ssm_conv_f32ILb0ELm128ELm3EEvPKfS1_S1_iiiiPfiiil,comdat
	.globl	_ZL12ssm_conv_f32ILb0ELm128ELm3EEvPKfS1_S1_iiiiPfiiil ; -- Begin function _ZL12ssm_conv_f32ILb0ELm128ELm3EEvPKfS1_S1_iiiiPfiiil
	.p2align	8
	.type	_ZL12ssm_conv_f32ILb0ELm128ELm3EEvPKfS1_S1_iiiiPfiiil,@function
_ZL12ssm_conv_f32ILb0ELm128ELm3EEvPKfS1_S1_iiiiPfiiil: ; @_ZL12ssm_conv_f32ILb0ELm128ELm3EEvPKfS1_S1_iiiiPfiiil
; %bb.0:
	s_load_dwordx4 s[8:11], s[4:5], 0x1c
	s_load_dwordx4 s[0:3], s[4:5], 0x0
	s_load_dwordx2 s[12:13], s[4:5], 0x10
	s_mov_b32 s14, s7
	s_ashr_i32 s15, s7, 31
	s_lshl_b64 s[16:17], s[14:15], 7
	s_waitcnt lgkmcnt(0)
	s_ashr_i32 s7, s10, 31
	s_mul_i32 s7, s16, s7
	s_mul_hi_u32 s11, s16, s10
	s_lshr_b64 s[14:15], s[14:15], 25
	s_add_i32 s7, s11, s7
	s_mul_i32 s11, s14, s10
	s_add_i32 s11, s7, s11
	s_mul_i32 s7, s16, s10
	s_add_u32 s7, s2, s7
	s_addc_u32 s11, s3, s11
	s_cmp_eq_u64 s[12:13], 0
	v_lshlrev_b32_e32 v8, 2, v0
	s_cbranch_scc1 .LBB10_2
; %bb.1:
	s_lshl_b64 s[2:3], s[16:17], 2
	s_add_u32 s2, s12, s2
	s_addc_u32 s3, s13, s3
	global_load_dword v10, v8, s[2:3]
	s_load_dwordx2 s[2:3], s[4:5], 0x40
	s_waitcnt lgkmcnt(0)
	v_cmp_lt_i64_e64 s[12:13], s[2:3], 1
	s_and_b64 vcc, exec, s[12:13]
	s_cbranch_vccz .LBB10_3
	s_branch .LBB10_6
.LBB10_2:
	v_mov_b32_e32 v10, 0
	s_load_dwordx2 s[2:3], s[4:5], 0x40
	s_waitcnt lgkmcnt(0)
	v_cmp_lt_i64_e64 s[12:13], s[2:3], 1
	s_and_b64 vcc, exec, s[12:13]
	s_cbranch_vccnz .LBB10_6
.LBB10_3:
	s_ashr_i32 s10, s10, 2
	v_mul_lo_u32 v1, s10, v0
	v_mov_b32_e32 v4, s11
	s_load_dwordx2 s[10:11], s[4:5], 0x28
	s_load_dwordx4 s[12:15], s[4:5], 0x30
	s_ashr_i32 s4, s8, 31
	s_mul_hi_u32 s5, s16, s8
	s_mul_i32 s4, s16, s4
	s_waitcnt lgkmcnt(0)
	s_mul_i32 s15, s9, s6
	s_add_i32 s4, s5, s4
	s_mul_i32 s5, s17, s8
	s_mul_i32 s9, s14, s6
	s_ashr_i32 s18, s15, 31
	s_add_i32 s19, s4, s5
	s_ashr_i32 s14, s9, 31
	s_add_u32 s4, s10, s9
	s_addc_u32 s5, s11, s14
	s_ashr_i32 s6, s12, 31
	s_mul_hi_u32 s21, s16, s12
	s_mul_i32 s6, s16, s6
	s_add_i32 s6, s21, s6
	s_mul_i32 s17, s17, s12
	s_add_i32 s17, s6, s17
	s_mul_i32 s12, s16, s12
	s_add_u32 s4, s4, s12
	s_addc_u32 s5, s5, s17
	s_add_u32 s6, s0, s15
	s_mul_i32 s20, s16, s8
	s_addc_u32 s16, s1, s18
	s_add_u32 s6, s6, s20
	s_addc_u32 s16, s16, s19
	s_ashr_i32 s8, s8, 2
	v_ashrrev_i32_e32 v2, 31, v1
	v_mul_lo_u32 v3, s8, v0
	v_lshlrev_b64 v[1:2], 2, v[1:2]
	s_cmp_eq_u64 s[2:3], 1
	v_add_co_u32_e32 v0, vcc, s7, v1
	v_addc_co_u32_e32 v1, vcc, v4, v2, vcc
	v_ashrrev_i32_e32 v4, 31, v3
	v_lshlrev_b64 v[6:7], 2, v[3:4]
	v_mov_b32_e32 v4, s16
	v_add_co_u32_e32 v3, vcc, s6, v6
	v_addc_co_u32_e32 v4, vcc, v4, v7, vcc
	global_load_dwordx3 v[0:2], v[0:1], off
	s_nop 0
	global_load_dwordx3 v[3:5], v[3:4], off
	s_waitcnt vmcnt(0)
	v_fma_f32 v9, v0, v3, 0
	v_fmac_f32_e32 v9, v1, v4
	v_fmac_f32_e32 v9, v2, v5
	v_add_f32_e32 v9, v10, v9
	global_store_dword v8, v9, s[4:5]
	s_cbranch_scc1 .LBB10_6
; %bb.4:
	s_ashr_i32 s6, s13, 2
	s_ashr_i32 s7, s6, 31
	s_add_u32 s4, s2, -1
	s_addc_u32 s5, s3, -1
	s_add_u32 s0, s0, s15
	s_addc_u32 s1, s1, s18
	s_add_u32 s0, s0, s20
	s_addc_u32 s1, s1, s19
	s_lshl_b64 s[6:7], s[6:7], 2
	v_add_co_u32_e32 v6, vcc, s0, v6
	s_add_u32 s0, s12, s6
	v_mov_b32_e32 v9, s1
	s_addc_u32 s1, s17, s7
	s_add_u32 s2, s10, s9
	v_addc_co_u32_e32 v7, vcc, v9, v7, vcc
	s_addc_u32 s3, s11, s14
	v_add_co_u32_e32 v6, vcc, 12, v6
	s_add_u32 s0, s2, s0
	v_addc_co_u32_e32 v7, vcc, 0, v7, vcc
	s_addc_u32 s1, s3, s1
	v_mov_b32_e32 v9, s1
	v_add_co_u32_e32 v8, vcc, s0, v8
	v_addc_co_u32_e32 v9, vcc, 0, v9, vcc
	s_mov_b64 s[8:9], 1
	s_mov_b64 s[10:11], 3
	;; [unrolled: 1-line block ×4, first 2 shown]
	v_mov_b32_e32 v11, s7
.LBB10_5:                               ; =>This Inner Loop Header: Depth=1
	global_load_dword v12, v[6:7], off
	s_mul_i32 s3, s9, 0xaaaaaaab
	s_mul_hi_u32 s7, s8, 0xaaaaaaab
	s_mul_hi_u32 s2, s9, 0xaaaaaaab
	s_add_u32 s3, s3, s7
	s_mul_i32 s1, s8, 0xaaaaaaaa
	s_addc_u32 s2, s2, 0
	s_mul_hi_u32 s0, s8, 0xaaaaaaaa
	s_add_u32 s1, s1, s3
	s_addc_u32 s0, s0, 0
	s_add_u32 s0, s2, s0
	s_mul_i32 s17, s9, 0xaaaaaaaa
	s_addc_u32 s1, 0, 0
	s_mul_hi_u32 s16, s9, 0xaaaaaaaa
	s_add_u32 s0, s17, s0
	s_addc_u32 s1, s16, s1
	s_lshr_b64 s[0:1], s[0:1], 1
	s_mul_i32 s0, s0, 3
	s_mul_i32 s21, s11, 0xaaaaaaab
	s_mul_hi_u32 s22, s10, 0xaaaaaaab
	s_sub_i32 s7, s8, s0
	s_mul_hi_u32 s20, s11, 0xaaaaaaab
	s_add_u32 s0, s21, s22
	s_mul_i32 s19, s10, 0xaaaaaaaa
	s_addc_u32 s1, s20, 0
	s_mul_hi_u32 s18, s10, 0xaaaaaaaa
	s_add_u32 s0, s19, s0
	s_addc_u32 s0, s18, 0
	s_add_u32 s0, s1, s0
	s_mul_i32 s24, s11, 0xaaaaaaaa
	s_addc_u32 s1, 0, 0
	s_mul_hi_u32 s23, s11, 0xaaaaaaaa
	s_add_u32 s0, s24, s0
	s_addc_u32 s1, s23, s1
	s_lshr_b64 s[0:1], s[0:1], 1
	s_mul_i32 s0, s0, 3
	s_mul_i32 s28, s13, 0xaaaaaaab
	s_mul_hi_u32 s29, s12, 0xaaaaaaab
	s_sub_i32 s16, s10, s0
	;; [unrolled: 18-line block ×3, first 2 shown]
	s_mul_hi_u32 s35, s15, 0xaaaaaaab
	s_add_u32 s0, s36, s37
	s_mul_i32 s34, s14, 0xaaaaaaaa
	s_addc_u32 s1, s35, 0
	s_mul_hi_u32 s33, s14, 0xaaaaaaaa
	s_add_u32 s0, s34, s0
	s_addc_u32 s0, s33, 0
	s_add_u32 s0, s1, s0
	s_mul_i32 s39, s15, 0xaaaaaaaa
	s_addc_u32 s1, 0, 0
	s_mul_hi_u32 s38, s15, 0xaaaaaaaa
	s_add_u32 s0, s39, s0
	s_addc_u32 s1, s38, s1
	s_lshr_b64 s[0:1], s[0:1], 1
	s_mul_i32 s0, s0, 3
	v_add_co_u32_e32 v6, vcc, 4, v6
	s_sub_i32 s2, s14, s0
	v_addc_co_u32_e32 v7, vcc, 0, v7, vcc
	s_cmp_eq_u32 s2, 2
	s_cselect_b64 vcc, -1, 0
	s_cmp_eq_u32 s2, 1
	s_cselect_b64 s[0:1], -1, 0
	s_cmp_eq_u32 s2, 0
	s_cselect_b64 s[2:3], -1, 0
	s_cmp_eq_u32 s7, 1
	s_waitcnt vmcnt(0)
	v_cndmask_b32_e32 v5, v5, v12, vcc
	v_cndmask_b32_e64 v4, v4, v12, s[0:1]
	v_cndmask_b32_e64 v3, v3, v12, s[2:3]
	s_cselect_b64 vcc, -1, 0
	s_cmp_eq_u32 s7, 2
	v_cndmask_b32_e32 v12, v3, v4, vcc
	s_cselect_b64 vcc, -1, 0
	s_add_u32 s8, s8, 1
	s_addc_u32 s9, s9, 0
	s_cmp_eq_u32 s17, 1
	v_cndmask_b32_e32 v12, v12, v5, vcc
	s_cselect_b64 vcc, -1, 0
	s_cmp_eq_u32 s17, 2
	v_cndmask_b32_e32 v13, v3, v4, vcc
	s_cselect_b64 vcc, -1, 0
	s_cmp_eq_u32 s16, 1
	v_fma_f32 v12, v0, v12, 0
	v_cndmask_b32_e32 v13, v13, v5, vcc
	s_cselect_b64 vcc, -1, 0
	s_cmp_eq_u32 s16, 2
	v_fmac_f32_e32 v12, v1, v13
	v_cndmask_b32_e32 v13, v3, v4, vcc
	s_cselect_b64 vcc, -1, 0
	s_add_u32 s10, s10, 1
	s_addc_u32 s11, s11, 0
	s_add_u32 s4, s4, -1
	s_addc_u32 s5, s5, -1
	v_cndmask_b32_e32 v13, v13, v5, vcc
	s_add_u32 s12, s12, 1
	v_fmac_f32_e32 v12, v2, v13
	s_addc_u32 s13, s13, 0
	v_add_f32_e32 v12, v10, v12
	s_add_u32 s14, s14, 1
	global_store_dword v[8:9], v12, off
	v_add_co_u32_e32 v8, vcc, s6, v8
	s_addc_u32 s15, s15, 0
	s_cmp_eq_u64 s[4:5], 0
	v_addc_co_u32_e32 v9, vcc, v9, v11, vcc
	s_cbranch_scc0 .LBB10_5
.LBB10_6:
	s_endpgm
	.section	.rodata,"a",@progbits
	.p2align	6, 0x0
	.amdhsa_kernel _ZL12ssm_conv_f32ILb0ELm128ELm3EEvPKfS1_S1_iiiiPfiiil
		.amdhsa_group_segment_fixed_size 0
		.amdhsa_private_segment_fixed_size 0
		.amdhsa_kernarg_size 72
		.amdhsa_user_sgpr_count 6
		.amdhsa_user_sgpr_private_segment_buffer 1
		.amdhsa_user_sgpr_dispatch_ptr 0
		.amdhsa_user_sgpr_queue_ptr 0
		.amdhsa_user_sgpr_kernarg_segment_ptr 1
		.amdhsa_user_sgpr_dispatch_id 0
		.amdhsa_user_sgpr_flat_scratch_init 0
		.amdhsa_user_sgpr_private_segment_size 0
		.amdhsa_uses_dynamic_stack 0
		.amdhsa_system_sgpr_private_segment_wavefront_offset 0
		.amdhsa_system_sgpr_workgroup_id_x 1
		.amdhsa_system_sgpr_workgroup_id_y 1
		.amdhsa_system_sgpr_workgroup_id_z 0
		.amdhsa_system_sgpr_workgroup_info 0
		.amdhsa_system_vgpr_workitem_id 0
		.amdhsa_next_free_vgpr 14
		.amdhsa_next_free_sgpr 40
		.amdhsa_reserve_vcc 1
		.amdhsa_reserve_flat_scratch 0
		.amdhsa_float_round_mode_32 0
		.amdhsa_float_round_mode_16_64 0
		.amdhsa_float_denorm_mode_32 3
		.amdhsa_float_denorm_mode_16_64 3
		.amdhsa_dx10_clamp 1
		.amdhsa_ieee_mode 1
		.amdhsa_fp16_overflow 0
		.amdhsa_exception_fp_ieee_invalid_op 0
		.amdhsa_exception_fp_denorm_src 0
		.amdhsa_exception_fp_ieee_div_zero 0
		.amdhsa_exception_fp_ieee_overflow 0
		.amdhsa_exception_fp_ieee_underflow 0
		.amdhsa_exception_fp_ieee_inexact 0
		.amdhsa_exception_int_div_zero 0
	.end_amdhsa_kernel
	.section	.text._ZL12ssm_conv_f32ILb0ELm128ELm3EEvPKfS1_S1_iiiiPfiiil,"axG",@progbits,_ZL12ssm_conv_f32ILb0ELm128ELm3EEvPKfS1_S1_iiiiPfiiil,comdat
.Lfunc_end10:
	.size	_ZL12ssm_conv_f32ILb0ELm128ELm3EEvPKfS1_S1_iiiiPfiiil, .Lfunc_end10-_ZL12ssm_conv_f32ILb0ELm128ELm3EEvPKfS1_S1_iiiiPfiiil
                                        ; -- End function
	.set _ZL12ssm_conv_f32ILb0ELm128ELm3EEvPKfS1_S1_iiiiPfiiil.num_vgpr, 14
	.set _ZL12ssm_conv_f32ILb0ELm128ELm3EEvPKfS1_S1_iiiiPfiiil.num_agpr, 0
	.set _ZL12ssm_conv_f32ILb0ELm128ELm3EEvPKfS1_S1_iiiiPfiiil.numbered_sgpr, 40
	.set _ZL12ssm_conv_f32ILb0ELm128ELm3EEvPKfS1_S1_iiiiPfiiil.num_named_barrier, 0
	.set _ZL12ssm_conv_f32ILb0ELm128ELm3EEvPKfS1_S1_iiiiPfiiil.private_seg_size, 0
	.set _ZL12ssm_conv_f32ILb0ELm128ELm3EEvPKfS1_S1_iiiiPfiiil.uses_vcc, 1
	.set _ZL12ssm_conv_f32ILb0ELm128ELm3EEvPKfS1_S1_iiiiPfiiil.uses_flat_scratch, 0
	.set _ZL12ssm_conv_f32ILb0ELm128ELm3EEvPKfS1_S1_iiiiPfiiil.has_dyn_sized_stack, 0
	.set _ZL12ssm_conv_f32ILb0ELm128ELm3EEvPKfS1_S1_iiiiPfiiil.has_recursion, 0
	.set _ZL12ssm_conv_f32ILb0ELm128ELm3EEvPKfS1_S1_iiiiPfiiil.has_indirect_call, 0
	.section	.AMDGPU.csdata,"",@progbits
; Kernel info:
; codeLenInByte = 1168
; TotalNumSgprs: 44
; NumVgprs: 14
; ScratchSize: 0
; MemoryBound: 0
; FloatMode: 240
; IeeeMode: 1
; LDSByteSize: 0 bytes/workgroup (compile time only)
; SGPRBlocks: 5
; VGPRBlocks: 3
; NumSGPRsForWavesPerEU: 44
; NumVGPRsForWavesPerEU: 14
; Occupancy: 10
; WaveLimiterHint : 0
; COMPUTE_PGM_RSRC2:SCRATCH_EN: 0
; COMPUTE_PGM_RSRC2:USER_SGPR: 6
; COMPUTE_PGM_RSRC2:TRAP_HANDLER: 0
; COMPUTE_PGM_RSRC2:TGID_X_EN: 1
; COMPUTE_PGM_RSRC2:TGID_Y_EN: 1
; COMPUTE_PGM_RSRC2:TGID_Z_EN: 0
; COMPUTE_PGM_RSRC2:TIDIG_COMP_CNT: 0
	.section	.text._ZL23ssm_conv_long_token_f32ILb0ELm128ELm3ELl32EEvPKfS1_S1_iiiiPfiiil,"axG",@progbits,_ZL23ssm_conv_long_token_f32ILb0ELm128ELm3ELl32EEvPKfS1_S1_iiiiPfiiil,comdat
	.globl	_ZL23ssm_conv_long_token_f32ILb0ELm128ELm3ELl32EEvPKfS1_S1_iiiiPfiiil ; -- Begin function _ZL23ssm_conv_long_token_f32ILb0ELm128ELm3ELl32EEvPKfS1_S1_iiiiPfiiil
	.p2align	8
	.type	_ZL23ssm_conv_long_token_f32ILb0ELm128ELm3ELl32EEvPKfS1_S1_iiiiPfiiil,@function
_ZL23ssm_conv_long_token_f32ILb0ELm128ELm3ELl32EEvPKfS1_S1_iiiiPfiiil: ; @_ZL23ssm_conv_long_token_f32ILb0ELm128ELm3ELl32EEvPKfS1_S1_iiiiPfiiil
; %bb.0:
	s_load_dwordx2 s[12:13], s[4:5], 0x0
	s_load_dwordx4 s[0:3], s[4:5], 0x18
	s_mov_b32 s10, s7
	v_mul_u32_u24_e32 v1, 0x788, v0
	v_lshrrev_b32_e32 v4, 16, v1
	v_mul_lo_u16_e32 v1, 34, v4
	s_waitcnt lgkmcnt(0)
	s_mul_i32 s2, s2, s6
	s_ashr_i32 s7, s2, 31
	s_add_u32 s2, s12, s2
	s_addc_u32 s7, s13, s7
	s_ashr_i32 s11, s10, 31
	s_lshl_b64 s[12:13], s[10:11], 7
	s_ashr_i32 s9, s1, 31
	s_mul_i32 s9, s12, s9
	s_mul_hi_u32 s14, s12, s1
	s_lshr_b64 s[10:11], s[10:11], 25
	s_add_i32 s9, s14, s9
	s_mul_i32 s10, s10, s1
	s_add_i32 s9, s9, s10
	s_mul_i32 s10, s12, s1
	s_add_u32 s2, s2, s10
	s_addc_u32 s7, s7, s9
	s_ashr_i32 s9, s8, 31
	s_lshl_b64 s[14:15], s[8:9], 5
	s_ashr_i32 s10, s0, 31
	s_mul_i32 s10, s14, s10
	s_mul_hi_u32 s11, s14, s0
	s_lshr_b64 s[8:9], s[8:9], 27
	s_add_i32 s10, s11, s10
	s_mul_i32 s8, s8, s0
	s_add_i32 s10, s10, s8
	s_mul_i32 s0, s14, s0
	s_add_u32 s2, s2, s0
	s_addc_u32 s7, s7, s10
	s_ashr_i32 s20, s1, 2
	v_sub_u16_e32 v1, v0, v1
	v_mad_u64_u32 v[2:3], s[0:1], s20, v4, v[1:2]
	v_mov_b32_e32 v5, s7
	s_movk_i32 s9, 0x88
	v_ashrrev_i32_e32 v3, 31, v2
	v_lshlrev_b64 v[2:3], 2, v[2:3]
	s_movk_i32 s8, 0x80
	v_add_co_u32_e32 v2, vcc, s2, v2
	v_addc_co_u32_e32 v3, vcc, v5, v3, vcc
	global_load_dword v2, v[2:3], off
	v_mul_u32_u24_e32 v3, 0x88, v4
	v_lshlrev_b32_e32 v5, 2, v1
	v_add3_u32 v3, 0, v3, v5
	v_or_b32_e32 v1, 0x80, v1
	v_mov_b32_e32 v5, s7
	s_waitcnt vmcnt(0)
	ds_write_b32 v3, v2
	v_mul_lo_u16_e32 v2, 0xf1, v1
	v_lshrrev_b16_e32 v2, 13, v2
	v_add_u32_e32 v4, v4, v2
	v_mul_lo_u16_e32 v2, 34, v2
	v_sub_u16_e32 v1, v1, v2
	v_and_b32_e32 v1, 0xff, v1
	v_mad_u64_u32 v[2:3], s[0:1], v4, s20, v[1:2]
	v_ashrrev_i32_e32 v3, 31, v2
	v_lshlrev_b64 v[2:3], 2, v[2:3]
	v_add_co_u32_e32 v2, vcc, s2, v2
	v_addc_co_u32_e32 v3, vcc, v5, v3, vcc
	global_load_dword v2, v[2:3], off
	v_mul_u32_u24_e32 v3, 0x88, v4
	v_lshlrev_b32_e32 v5, 2, v1
	v_add3_u32 v3, 0, v3, v5
	v_or_b32_e32 v1, 0x80, v1
	v_mov_b32_e32 v5, s7
	s_waitcnt vmcnt(0)
	ds_write_b32 v3, v2
	v_mul_lo_u16_e32 v2, 0xf1, v1
	v_lshrrev_b16_e32 v2, 13, v2
	v_add_u32_e32 v4, v4, v2
	v_mul_lo_u16_e32 v2, 34, v2
	v_sub_u16_e32 v1, v1, v2
	v_and_b32_e32 v1, 0xff, v1
	v_mad_u64_u32 v[2:3], s[0:1], v4, s20, v[1:2]
	v_ashrrev_i32_e32 v3, 31, v2
	v_lshlrev_b64 v[2:3], 2, v[2:3]
	v_add_co_u32_e32 v2, vcc, s2, v2
	v_addc_co_u32_e32 v3, vcc, v5, v3, vcc
	global_load_dword v2, v[2:3], off
	v_mul_u32_u24_e32 v3, 0x88, v4
	v_lshlrev_b32_e32 v5, 2, v1
	v_add3_u32 v3, 0, v3, v5
	v_or_b32_e32 v1, 0x80, v1
	v_mov_b32_e32 v5, s7
	s_waitcnt vmcnt(0)
	ds_write_b32 v3, v2
	v_mul_lo_u16_e32 v2, 0xf1, v1
	v_lshrrev_b16_e32 v2, 13, v2
	v_add_u32_e32 v4, v4, v2
	v_mul_lo_u16_e32 v2, 34, v2
	v_sub_u16_e32 v1, v1, v2
	v_and_b32_e32 v1, 0xff, v1
	v_mad_u64_u32 v[2:3], s[0:1], v4, s20, v[1:2]
	v_ashrrev_i32_e32 v3, 31, v2
	v_lshlrev_b64 v[2:3], 2, v[2:3]
	v_add_co_u32_e32 v2, vcc, s2, v2
	v_addc_co_u32_e32 v3, vcc, v5, v3, vcc
	global_load_dword v2, v[2:3], off
	v_mul_u32_u24_e32 v3, 0x88, v4
	v_lshlrev_b32_e32 v5, 2, v1
	v_add3_u32 v3, 0, v3, v5
	v_or_b32_e32 v1, 0x80, v1
	v_mov_b32_e32 v5, s7
	s_waitcnt vmcnt(0)
	ds_write_b32 v3, v2
	v_mul_lo_u16_e32 v2, 0xf1, v1
	v_lshrrev_b16_e32 v2, 13, v2
	v_add_u32_e32 v4, v4, v2
	v_mul_lo_u16_e32 v2, 34, v2
	v_sub_u16_e32 v1, v1, v2
	v_and_b32_e32 v1, 0xff, v1
	v_mad_u64_u32 v[2:3], s[0:1], v4, s20, v[1:2]
	v_ashrrev_i32_e32 v3, 31, v2
	v_lshlrev_b64 v[2:3], 2, v[2:3]
	v_add_co_u32_e32 v2, vcc, s2, v2
	v_addc_co_u32_e32 v3, vcc, v5, v3, vcc
	global_load_dword v2, v[2:3], off
	v_mul_u32_u24_e32 v3, 0x88, v4
	v_lshlrev_b32_e32 v5, 2, v1
	v_add3_u32 v3, 0, v3, v5
	v_or_b32_e32 v1, 0x80, v1
	v_mov_b32_e32 v5, s7
	s_waitcnt vmcnt(0)
	ds_write_b32 v3, v2
	v_mul_lo_u16_e32 v2, 0xf1, v1
	v_lshrrev_b16_e32 v2, 13, v2
	v_add_u32_e32 v4, v4, v2
	v_mul_lo_u16_e32 v2, 34, v2
	v_sub_u16_e32 v1, v1, v2
	v_and_b32_e32 v1, 0xff, v1
	v_mad_u64_u32 v[2:3], s[0:1], v4, s20, v[1:2]
	v_ashrrev_i32_e32 v3, 31, v2
	v_lshlrev_b64 v[2:3], 2, v[2:3]
	v_add_co_u32_e32 v2, vcc, s2, v2
	v_addc_co_u32_e32 v3, vcc, v5, v3, vcc
	global_load_dword v2, v[2:3], off
	v_mul_u32_u24_e32 v3, 0x88, v4
	v_lshlrev_b32_e32 v5, 2, v1
	v_add3_u32 v3, 0, v3, v5
	v_or_b32_e32 v1, 0x80, v1
	v_mov_b32_e32 v5, s7
	s_waitcnt vmcnt(0)
	ds_write_b32 v3, v2
	v_mul_lo_u16_e32 v2, 0xf1, v1
	v_lshrrev_b16_e32 v2, 13, v2
	v_add_u32_e32 v4, v4, v2
	v_mul_lo_u16_e32 v2, 34, v2
	v_sub_u16_e32 v1, v1, v2
	v_and_b32_e32 v1, 0xff, v1
	v_mad_u64_u32 v[2:3], s[0:1], v4, s20, v[1:2]
	v_ashrrev_i32_e32 v3, 31, v2
	v_lshlrev_b64 v[2:3], 2, v[2:3]
	v_add_co_u32_e32 v2, vcc, s2, v2
	v_addc_co_u32_e32 v3, vcc, v5, v3, vcc
	global_load_dword v2, v[2:3], off
	v_mul_lo_u32 v3, v4, s9
	v_lshlrev_b32_e32 v5, 2, v1
	v_or_b32_e32 v1, 0x80, v1
	v_add3_u32 v3, 0, v3, v5
	v_mov_b32_e32 v5, s7
	s_waitcnt vmcnt(0)
	ds_write_b32 v3, v2
	v_mul_lo_u16_e32 v2, 0xf1, v1
	v_lshrrev_b16_e32 v2, 13, v2
	v_add_u32_e32 v4, v4, v2
	v_mul_lo_u16_e32 v2, 34, v2
	v_sub_u16_e32 v1, v1, v2
	v_and_b32_e32 v1, 0xff, v1
	v_mad_u64_u32 v[2:3], s[0:1], v4, s20, v[1:2]
	v_ashrrev_i32_e32 v3, 31, v2
	v_lshlrev_b64 v[2:3], 2, v[2:3]
	v_add_co_u32_e32 v2, vcc, s2, v2
	v_addc_co_u32_e32 v3, vcc, v5, v3, vcc
	global_load_dword v2, v[2:3], off
	v_mul_lo_u32 v3, v4, s9
	v_lshlrev_b32_e32 v5, 2, v1
	v_or_b32_e32 v1, 0x80, v1
	v_add3_u32 v3, 0, v3, v5
	v_mov_b32_e32 v5, s7
	s_waitcnt vmcnt(0)
	ds_write_b32 v3, v2
	v_mul_lo_u16_e32 v2, 0xf1, v1
	v_lshrrev_b16_e32 v2, 13, v2
	v_add_u32_e32 v4, v4, v2
	v_mul_lo_u16_e32 v2, 34, v2
	v_sub_u16_e32 v1, v1, v2
	v_and_b32_e32 v1, 0xff, v1
	v_mad_u64_u32 v[2:3], s[0:1], v4, s20, v[1:2]
	v_ashrrev_i32_e32 v3, 31, v2
	v_lshlrev_b64 v[2:3], 2, v[2:3]
	;; [unrolled: 19-line block ×13, first 2 shown]
	v_add_co_u32_e32 v2, vcc, s2, v2
	v_addc_co_u32_e32 v3, vcc, v5, v3, vcc
	global_load_dword v2, v[2:3], off
	v_mul_lo_u32 v3, v4, s9
	v_lshlrev_b32_e32 v5, 2, v1
	v_or_b32_e32 v1, 0x80, v1
	v_add3_u32 v3, 0, v3, v5
	s_waitcnt vmcnt(0)
	ds_write_b32 v3, v2
	v_mul_lo_u16_e32 v2, 0xf1, v1
	v_lshrrev_b16_e32 v3, 13, v2
	v_add_u32_e32 v2, v4, v3
	v_mul_lo_u16_e32 v3, 34, v3
	v_sub_u16_e32 v1, v1, v3
	v_and_b32_e32 v1, 0xff, v1
	v_cmp_gt_u32_e32 vcc, s8, v2
	s_and_saveexec_b64 s[0:1], vcc
	s_cbranch_execz .LBB11_2
; %bb.1:
	v_mad_u64_u32 v[3:4], s[10:11], v2, s20, v[1:2]
	v_mov_b32_e32 v5, s7
	v_ashrrev_i32_e32 v4, 31, v3
	v_lshlrev_b64 v[3:4], 2, v[3:4]
	v_add_co_u32_e32 v3, vcc, s2, v3
	v_addc_co_u32_e32 v4, vcc, v5, v4, vcc
	global_load_dword v3, v[3:4], off
	v_mul_lo_u32 v4, v2, s9
	v_lshlrev_b32_e32 v5, 2, v1
	v_add3_u32 v4, 0, v4, v5
	s_waitcnt vmcnt(0)
	ds_write_b32 v4, v3
.LBB11_2:
	s_or_b64 exec, exec, s[0:1]
	v_or_b32_e32 v1, 0x80, v1
	v_mul_lo_u16_e32 v3, 0xf1, v1
	v_lshrrev_b16_e32 v3, 13, v3
	v_add_u32_e32 v2, v2, v3
	v_mul_lo_u16_e32 v3, 34, v3
	v_sub_u16_e32 v1, v1, v3
	v_and_b32_e32 v1, 0xff, v1
	v_cmp_gt_u32_e32 vcc, s8, v2
	s_and_saveexec_b64 s[0:1], vcc
	s_cbranch_execz .LBB11_4
; %bb.3:
	v_mad_u64_u32 v[3:4], s[8:9], v2, s20, v[1:2]
	v_mov_b32_e32 v5, s7
	s_movk_i32 s8, 0x88
	v_ashrrev_i32_e32 v4, 31, v3
	v_lshlrev_b64 v[3:4], 2, v[3:4]
	v_add_co_u32_e32 v3, vcc, s2, v3
	v_addc_co_u32_e32 v4, vcc, v5, v4, vcc
	global_load_dword v3, v[3:4], off
	v_mul_lo_u32 v4, v2, s8
	v_lshlrev_b32_e32 v5, 2, v1
	v_add3_u32 v4, 0, v4, v5
	s_waitcnt vmcnt(0)
	ds_write_b32 v4, v3
.LBB11_4:
	s_or_b64 exec, exec, s[0:1]
	v_or_b32_e32 v1, 0x80, v1
	v_mul_lo_u16_e32 v3, 0xf1, v1
	v_lshrrev_b16_e32 v3, 13, v3
	v_add_u32_e32 v2, v2, v3
	v_mul_lo_u16_e32 v3, 34, v3
	s_movk_i32 s8, 0x80
	v_sub_u16_e32 v1, v1, v3
	v_and_b32_e32 v1, 0xff, v1
	v_cmp_gt_u32_e32 vcc, s8, v2
	s_and_saveexec_b64 s[0:1], vcc
	s_cbranch_execz .LBB11_6
; %bb.5:
	v_mad_u64_u32 v[3:4], s[10:11], v2, s20, v[1:2]
	v_mov_b32_e32 v5, s7
	s_movk_i32 s9, 0x88
	v_ashrrev_i32_e32 v4, 31, v3
	v_lshlrev_b64 v[3:4], 2, v[3:4]
	v_add_co_u32_e32 v3, vcc, s2, v3
	v_addc_co_u32_e32 v4, vcc, v5, v4, vcc
	global_load_dword v3, v[3:4], off
	v_mul_lo_u32 v4, v2, s9
	v_lshlrev_b32_e32 v5, 2, v1
	v_add3_u32 v4, 0, v4, v5
	s_waitcnt vmcnt(0)
	ds_write_b32 v4, v3
.LBB11_6:
	s_or_b64 exec, exec, s[0:1]
	v_or_b32_e32 v1, 0x80, v1
	v_mul_lo_u16_e32 v3, 0xf1, v1
	v_lshrrev_b16_e32 v3, 13, v3
	v_add_u32_e32 v2, v2, v3
	v_mul_lo_u16_e32 v3, 34, v3
	v_sub_u16_e32 v1, v1, v3
	v_and_b32_e32 v1, 0xff, v1
	v_cmp_gt_u32_e32 vcc, s8, v2
	s_and_saveexec_b64 s[0:1], vcc
	s_cbranch_execz .LBB11_8
; %bb.7:
	v_mad_u64_u32 v[3:4], s[8:9], v2, s20, v[1:2]
	v_mov_b32_e32 v5, s7
	s_movk_i32 s8, 0x88
	v_ashrrev_i32_e32 v4, 31, v3
	v_lshlrev_b64 v[3:4], 2, v[3:4]
	v_add_co_u32_e32 v3, vcc, s2, v3
	v_addc_co_u32_e32 v4, vcc, v5, v4, vcc
	global_load_dword v3, v[3:4], off
	v_mul_lo_u32 v4, v2, s8
	v_lshlrev_b32_e32 v5, 2, v1
	v_add3_u32 v4, 0, v4, v5
	s_waitcnt vmcnt(0)
	ds_write_b32 v4, v3
.LBB11_8:
	s_or_b64 exec, exec, s[0:1]
	v_or_b32_e32 v1, 0x80, v1
	v_mul_lo_u16_e32 v3, 0xf1, v1
	v_lshrrev_b16_e32 v3, 13, v3
	v_add_u32_e32 v2, v2, v3
	v_mul_lo_u16_e32 v3, 34, v3
	s_movk_i32 s8, 0x80
	v_sub_u16_e32 v1, v1, v3
	v_and_b32_e32 v1, 0xff, v1
	v_cmp_gt_u32_e32 vcc, s8, v2
	s_and_saveexec_b64 s[0:1], vcc
	s_cbranch_execz .LBB11_10
; %bb.9:
	v_mad_u64_u32 v[3:4], s[10:11], v2, s20, v[1:2]
	v_mov_b32_e32 v5, s7
	s_movk_i32 s9, 0x88
	v_ashrrev_i32_e32 v4, 31, v3
	v_lshlrev_b64 v[3:4], 2, v[3:4]
	v_add_co_u32_e32 v3, vcc, s2, v3
	v_addc_co_u32_e32 v4, vcc, v5, v4, vcc
	global_load_dword v3, v[3:4], off
	v_mul_lo_u32 v4, v2, s9
	v_lshlrev_b32_e32 v5, 2, v1
	v_add3_u32 v4, 0, v4, v5
	s_waitcnt vmcnt(0)
	ds_write_b32 v4, v3
.LBB11_10:
	;; [unrolled: 53-line block ×3, first 2 shown]
	s_or_b64 exec, exec, s[0:1]
	s_load_dwordx4 s[8:11], s[4:5], 0x8
	s_load_dwordx2 s[0:1], s[4:5], 0x28
	s_movk_i32 s16, 0x380
	v_cmp_gt_u32_e32 vcc, s16, v0
	s_and_saveexec_b64 s[16:17], vcc
	s_cbranch_execz .LBB11_35
; %bb.15:
	v_or_b32_e32 v1, 0x80, v1
	v_mul_lo_u16_e32 v3, 0xf1, v1
	v_lshrrev_b16_e32 v3, 13, v3
	v_add_u32_e32 v2, v2, v3
	v_mul_lo_u16_e32 v3, 34, v3
	s_movk_i32 s18, 0x80
	v_sub_u16_e32 v1, v1, v3
	v_and_b32_e32 v1, 0xff, v1
	v_cmp_gt_u32_e32 vcc, s18, v2
	s_and_saveexec_b64 s[18:19], vcc
	s_cbranch_execz .LBB11_17
; %bb.16:
	v_mad_u64_u32 v[3:4], s[22:23], v2, s20, v[1:2]
	v_mov_b32_e32 v5, s7
	s_movk_i32 s21, 0x88
	v_ashrrev_i32_e32 v4, 31, v3
	v_lshlrev_b64 v[3:4], 2, v[3:4]
	v_add_co_u32_e32 v3, vcc, s2, v3
	v_addc_co_u32_e32 v4, vcc, v5, v4, vcc
	global_load_dword v3, v[3:4], off
	v_mul_lo_u32 v4, v2, s21
	v_lshlrev_b32_e32 v5, 2, v1
	v_add3_u32 v4, 0, v4, v5
	s_waitcnt vmcnt(0)
	ds_write_b32 v4, v3
.LBB11_17:
	s_or_b64 exec, exec, s[18:19]
	s_movk_i32 s18, 0x300
	v_cmp_gt_u32_e32 vcc, s18, v0
	s_and_b64 exec, exec, vcc
	s_cbranch_execz .LBB11_35
; %bb.18:
	v_or_b32_e32 v1, 0x80, v1
	v_mul_lo_u16_e32 v3, 0xf1, v1
	v_lshrrev_b16_e32 v3, 13, v3
	v_add_u32_e32 v2, v2, v3
	v_mul_lo_u16_e32 v3, 34, v3
	s_movk_i32 s18, 0x80
	v_sub_u16_e32 v1, v1, v3
	v_and_b32_e32 v1, 0xff, v1
	v_cmp_gt_u32_e32 vcc, s18, v2
	s_and_saveexec_b64 s[18:19], vcc
	s_cbranch_execz .LBB11_20
; %bb.19:
	v_mad_u64_u32 v[3:4], s[22:23], v2, s20, v[1:2]
	v_mov_b32_e32 v5, s7
	s_movk_i32 s21, 0x88
	v_ashrrev_i32_e32 v4, 31, v3
	v_lshlrev_b64 v[3:4], 2, v[3:4]
	v_add_co_u32_e32 v3, vcc, s2, v3
	v_addc_co_u32_e32 v4, vcc, v5, v4, vcc
	global_load_dword v3, v[3:4], off
	v_mul_lo_u32 v4, v2, s21
	v_lshlrev_b32_e32 v5, 2, v1
	v_add3_u32 v4, 0, v4, v5
	s_waitcnt vmcnt(0)
	ds_write_b32 v4, v3
.LBB11_20:
	s_or_b64 exec, exec, s[18:19]
	s_movk_i32 s18, 0x280
	v_cmp_gt_u32_e32 vcc, s18, v0
	s_and_b64 exec, exec, vcc
	s_cbranch_execz .LBB11_35
; %bb.21:
	v_or_b32_e32 v1, 0x80, v1
	v_mul_lo_u16_e32 v3, 0xf1, v1
	v_lshrrev_b16_e32 v3, 13, v3
	v_add_u32_e32 v2, v2, v3
	v_mul_lo_u16_e32 v3, 34, v3
	s_movk_i32 s18, 0x80
	v_sub_u16_e32 v1, v1, v3
	v_and_b32_e32 v1, 0xff, v1
	v_cmp_gt_u32_e32 vcc, s18, v2
	s_and_saveexec_b64 s[18:19], vcc
	s_cbranch_execz .LBB11_23
; %bb.22:
	v_mad_u64_u32 v[3:4], s[22:23], v2, s20, v[1:2]
	v_mov_b32_e32 v5, s7
	s_movk_i32 s21, 0x88
	v_ashrrev_i32_e32 v4, 31, v3
	v_lshlrev_b64 v[3:4], 2, v[3:4]
	v_add_co_u32_e32 v3, vcc, s2, v3
	v_addc_co_u32_e32 v4, vcc, v5, v4, vcc
	global_load_dword v3, v[3:4], off
	v_mul_lo_u32 v4, v2, s21
	v_lshlrev_b32_e32 v5, 2, v1
	v_add3_u32 v4, 0, v4, v5
	s_waitcnt vmcnt(0)
	ds_write_b32 v4, v3
.LBB11_23:
	s_or_b64 exec, exec, s[18:19]
	s_movk_i32 s18, 0x200
	v_cmp_gt_u32_e32 vcc, s18, v0
	s_and_b64 exec, exec, vcc
	s_cbranch_execz .LBB11_35
; %bb.24:
	v_or_b32_e32 v1, 0x80, v1
	v_mul_lo_u16_e32 v3, 0xf1, v1
	v_lshrrev_b16_e32 v3, 13, v3
	v_add_u32_e32 v2, v2, v3
	v_mul_lo_u16_e32 v3, 34, v3
	s_movk_i32 s18, 0x80
	v_sub_u16_e32 v1, v1, v3
	v_and_b32_e32 v1, 0xff, v1
	v_cmp_gt_u32_e32 vcc, s18, v2
	s_and_saveexec_b64 s[18:19], vcc
	s_cbranch_execz .LBB11_26
; %bb.25:
	v_mad_u64_u32 v[3:4], s[22:23], v2, s20, v[1:2]
	v_mov_b32_e32 v5, s7
	s_movk_i32 s21, 0x88
	v_ashrrev_i32_e32 v4, 31, v3
	v_lshlrev_b64 v[3:4], 2, v[3:4]
	v_add_co_u32_e32 v3, vcc, s2, v3
	v_addc_co_u32_e32 v4, vcc, v5, v4, vcc
	global_load_dword v3, v[3:4], off
	v_mul_lo_u32 v4, v2, s21
	v_lshlrev_b32_e32 v5, 2, v1
	v_add3_u32 v4, 0, v4, v5
	s_waitcnt vmcnt(0)
	ds_write_b32 v4, v3
.LBB11_26:
	s_or_b64 exec, exec, s[18:19]
	s_movk_i32 s18, 0x180
	v_cmp_gt_u32_e32 vcc, s18, v0
	s_and_b64 exec, exec, vcc
	s_cbranch_execz .LBB11_35
; %bb.27:
	v_or_b32_e32 v1, 0x80, v1
	v_mul_lo_u16_e32 v3, 0xf1, v1
	v_lshrrev_b16_e32 v3, 13, v3
	v_add_u32_e32 v2, v2, v3
	v_mul_lo_u16_e32 v3, 34, v3
	s_movk_i32 s18, 0x80
	v_sub_u16_e32 v1, v1, v3
	v_and_b32_e32 v1, 0xff, v1
	v_cmp_gt_u32_e32 vcc, s18, v2
	s_and_saveexec_b64 s[18:19], vcc
	s_cbranch_execz .LBB11_29
; %bb.28:
	v_mad_u64_u32 v[3:4], s[22:23], v2, s20, v[1:2]
	v_mov_b32_e32 v5, s7
	s_movk_i32 s21, 0x88
	v_ashrrev_i32_e32 v4, 31, v3
	v_lshlrev_b64 v[3:4], 2, v[3:4]
	v_add_co_u32_e32 v3, vcc, s2, v3
	v_addc_co_u32_e32 v4, vcc, v5, v4, vcc
	global_load_dword v3, v[3:4], off
	v_mul_lo_u32 v4, v2, s21
	v_lshlrev_b32_e32 v5, 2, v1
	v_add3_u32 v4, 0, v4, v5
	s_waitcnt vmcnt(0)
	ds_write_b32 v4, v3
.LBB11_29:
	s_or_b64 exec, exec, s[18:19]
	s_movk_i32 s18, 0x100
	v_cmp_gt_u32_e32 vcc, s18, v0
	s_and_b64 exec, exec, vcc
	s_cbranch_execz .LBB11_35
; %bb.30:
	v_or_b32_e32 v1, 0x80, v1
	v_mul_lo_u16_e32 v3, 0xf1, v1
	v_lshrrev_b16_e32 v3, 13, v3
	v_add_u32_e32 v2, v2, v3
	v_mul_lo_u16_e32 v3, 34, v3
	s_movk_i32 s21, 0x80
	v_sub_u16_e32 v1, v1, v3
	v_and_b32_e32 v1, 0xff, v1
	v_cmp_gt_u32_e32 vcc, s21, v2
	s_and_saveexec_b64 s[18:19], vcc
	s_cbranch_execz .LBB11_32
; %bb.31:
	v_mad_u64_u32 v[3:4], s[22:23], v2, s20, v[1:2]
	v_mov_b32_e32 v5, s7
	s_movk_i32 s22, 0x88
	v_ashrrev_i32_e32 v4, 31, v3
	v_lshlrev_b64 v[3:4], 2, v[3:4]
	v_add_co_u32_e32 v3, vcc, s2, v3
	v_addc_co_u32_e32 v4, vcc, v5, v4, vcc
	global_load_dword v3, v[3:4], off
	v_mul_lo_u32 v4, v2, s22
	v_lshlrev_b32_e32 v5, 2, v1
	v_add3_u32 v4, 0, v4, v5
	s_waitcnt vmcnt(0)
	ds_write_b32 v4, v3
.LBB11_32:
	s_or_b64 exec, exec, s[18:19]
	v_cmp_gt_u32_e32 vcc, s21, v0
	s_and_b64 exec, exec, vcc
	s_cbranch_execz .LBB11_35
; %bb.33:
	v_or_b32_e32 v3, 0x80, v1
	v_mul_lo_u16_e32 v1, 0xf1, v3
	v_lshrrev_b16_e32 v4, 13, v1
	s_movk_i32 s18, 0x80
	v_add_u32_e32 v1, v2, v4
	v_cmp_gt_u32_e32 vcc, s18, v1
	s_and_b64 exec, exec, vcc
	s_cbranch_execz .LBB11_35
; %bb.34:
	v_mul_lo_u16_e32 v2, 34, v4
	v_sub_u16_e32 v2, v3, v2
	v_and_b32_e32 v2, 0xff, v2
	v_mad_u64_u32 v[3:4], s[18:19], v1, s20, v[2:3]
	v_mov_b32_e32 v5, s7
	v_lshlrev_b32_e32 v2, 2, v2
	v_ashrrev_i32_e32 v4, 31, v3
	v_lshlrev_b64 v[3:4], 2, v[3:4]
	v_add_co_u32_e32 v3, vcc, s2, v3
	v_addc_co_u32_e32 v4, vcc, v5, v4, vcc
	global_load_dword v3, v[3:4], off
	s_movk_i32 s2, 0x88
	v_mul_lo_u32 v1, v1, s2
	v_add3_u32 v1, 0, v1, v2
	s_waitcnt vmcnt(0)
	ds_write_b32 v1, v3
.LBB11_35:
	s_or_b64 exec, exec, s[16:17]
	s_ashr_i32 s2, s3, 31
	s_mul_hi_u32 s7, s12, s3
	s_mul_i32 s2, s12, s2
	s_add_i32 s2, s7, s2
	s_mul_i32 s7, s13, s3
	s_add_i32 s2, s2, s7
	s_mul_i32 s7, s12, s3
	s_waitcnt lgkmcnt(0)
	s_add_u32 s7, s8, s7
	s_addc_u32 s2, s9, s2
	s_ashr_i32 s3, s3, 2
	v_mul_lo_u32 v1, s3, v0
	v_mov_b32_e32 v3, s2
	s_barrier
	v_ashrrev_i32_e32 v2, 31, v1
	v_lshlrev_b64 v[1:2], 2, v[1:2]
	v_add_co_u32_e32 v1, vcc, s7, v1
	v_addc_co_u32_e32 v2, vcc, v3, v2, vcc
	global_load_dwordx3 v[1:3], v[1:2], off
	s_cmp_eq_u64 s[10:11], 0
	v_lshlrev_b32_e32 v4, 2, v0
	s_cbranch_scc1 .LBB11_37
; %bb.36:
	s_lshl_b64 s[2:3], s[12:13], 2
	s_add_u32 s2, s10, s2
	s_addc_u32 s3, s11, s3
	global_load_dword v8, v4, s[2:3]
	s_branch .LBB11_38
.LBB11_37:
	v_mov_b32_e32 v8, 0
.LBB11_38:
	s_load_dwordx2 s[2:3], s[4:5], 0x40
	s_waitcnt lgkmcnt(0)
	s_sub_u32 s2, s2, s14
	s_subb_u32 s3, s3, s15
	v_cmp_lt_i64_e64 s[8:9], s[2:3], 1
	s_and_b64 vcc, exec, s[8:9]
	s_cbranch_vccnz .LBB11_41
; %bb.39:
	s_load_dwordx4 s[8:11], s[4:5], 0x30
	s_waitcnt lgkmcnt(0)
	s_mul_i32 s4, s10, s6
	s_ashr_i32 s10, s4, 31
	s_add_u32 s0, s0, s4
	s_addc_u32 s1, s1, s10
	s_ashr_i32 s4, s9, 31
	s_mul_hi_u32 s5, s14, s9
	s_mul_i32 s4, s14, s4
	s_mul_i32 s6, s15, s9
	s_add_i32 s4, s5, s4
	s_mul_i32 s7, s14, s9
	s_add_i32 s4, s4, s6
	s_add_u32 s0, s0, s7
	s_addc_u32 s1, s1, s4
	s_ashr_i32 s4, s8, 31
	s_mul_hi_u32 s5, s12, s8
	s_mul_i32 s4, s12, s4
	s_add_i32 s4, s5, s4
	s_mul_i32 s5, s13, s8
	s_add_i32 s4, s4, s5
	s_mul_i32 s5, s12, s8
	s_add_u32 s6, s0, s5
	s_addc_u32 s0, s1, s4
	s_movk_i32 s1, 0x88
	v_mad_u32_u24 v0, v0, s1, 0
	s_ashr_i32 s4, s9, 2
	v_mov_b32_e32 v5, s0
	v_cmp_lt_u64_e64 s[0:1], s[2:3], 32
	ds_read_b32 v6, v0
	s_ashr_i32 s5, s4, 31
	s_and_b64 s[0:1], s[0:1], exec
	v_add_co_u32_e32 v4, vcc, s6, v4
	s_cselect_b32 s1, s3, 0
	s_cselect_b32 s0, s2, 32
	s_lshl_b64 s[2:3], s[4:5], 2
	v_addc_co_u32_e32 v5, vcc, 0, v5, vcc
	v_mov_b32_e32 v9, s3
	s_waitcnt vmcnt(0)
.LBB11_40:                              ; =>This Inner Loop Header: Depth=1
	s_waitcnt lgkmcnt(0)
	v_fma_f32 v10, v1, v6, 0
	ds_read2_b32 v[6:7], v0 offset0:1 offset1:2
	s_add_u32 s0, s0, -1
	v_add_u32_e32 v11, 4, v0
	s_addc_u32 s1, s1, -1
	v_mov_b32_e32 v0, v11
	s_waitcnt lgkmcnt(0)
	v_fmac_f32_e32 v10, v2, v6
	v_fmac_f32_e32 v10, v3, v7
	v_add_f32_e32 v7, v8, v10
	global_store_dword v[4:5], v7, off
	v_add_co_u32_e32 v4, vcc, s2, v4
	s_cmp_lg_u64 s[0:1], 0
	v_addc_co_u32_e32 v5, vcc, v5, v9, vcc
	s_cbranch_scc1 .LBB11_40
.LBB11_41:
	s_endpgm
	.section	.rodata,"a",@progbits
	.p2align	6, 0x0
	.amdhsa_kernel _ZL23ssm_conv_long_token_f32ILb0ELm128ELm3ELl32EEvPKfS1_S1_iiiiPfiiil
		.amdhsa_group_segment_fixed_size 0
		.amdhsa_private_segment_fixed_size 0
		.amdhsa_kernarg_size 72
		.amdhsa_user_sgpr_count 6
		.amdhsa_user_sgpr_private_segment_buffer 1
		.amdhsa_user_sgpr_dispatch_ptr 0
		.amdhsa_user_sgpr_queue_ptr 0
		.amdhsa_user_sgpr_kernarg_segment_ptr 1
		.amdhsa_user_sgpr_dispatch_id 0
		.amdhsa_user_sgpr_flat_scratch_init 0
		.amdhsa_user_sgpr_private_segment_size 0
		.amdhsa_uses_dynamic_stack 0
		.amdhsa_system_sgpr_private_segment_wavefront_offset 0
		.amdhsa_system_sgpr_workgroup_id_x 1
		.amdhsa_system_sgpr_workgroup_id_y 1
		.amdhsa_system_sgpr_workgroup_id_z 1
		.amdhsa_system_sgpr_workgroup_info 0
		.amdhsa_system_vgpr_workitem_id 0
		.amdhsa_next_free_vgpr 12
		.amdhsa_next_free_sgpr 24
		.amdhsa_reserve_vcc 1
		.amdhsa_reserve_flat_scratch 0
		.amdhsa_float_round_mode_32 0
		.amdhsa_float_round_mode_16_64 0
		.amdhsa_float_denorm_mode_32 3
		.amdhsa_float_denorm_mode_16_64 3
		.amdhsa_dx10_clamp 1
		.amdhsa_ieee_mode 1
		.amdhsa_fp16_overflow 0
		.amdhsa_exception_fp_ieee_invalid_op 0
		.amdhsa_exception_fp_denorm_src 0
		.amdhsa_exception_fp_ieee_div_zero 0
		.amdhsa_exception_fp_ieee_overflow 0
		.amdhsa_exception_fp_ieee_underflow 0
		.amdhsa_exception_fp_ieee_inexact 0
		.amdhsa_exception_int_div_zero 0
	.end_amdhsa_kernel
	.section	.text._ZL23ssm_conv_long_token_f32ILb0ELm128ELm3ELl32EEvPKfS1_S1_iiiiPfiiil,"axG",@progbits,_ZL23ssm_conv_long_token_f32ILb0ELm128ELm3ELl32EEvPKfS1_S1_iiiiPfiiil,comdat
.Lfunc_end11:
	.size	_ZL23ssm_conv_long_token_f32ILb0ELm128ELm3ELl32EEvPKfS1_S1_iiiiPfiiil, .Lfunc_end11-_ZL23ssm_conv_long_token_f32ILb0ELm128ELm3ELl32EEvPKfS1_S1_iiiiPfiiil
                                        ; -- End function
	.set _ZL23ssm_conv_long_token_f32ILb0ELm128ELm3ELl32EEvPKfS1_S1_iiiiPfiiil.num_vgpr, 12
	.set _ZL23ssm_conv_long_token_f32ILb0ELm128ELm3ELl32EEvPKfS1_S1_iiiiPfiiil.num_agpr, 0
	.set _ZL23ssm_conv_long_token_f32ILb0ELm128ELm3ELl32EEvPKfS1_S1_iiiiPfiiil.numbered_sgpr, 24
	.set _ZL23ssm_conv_long_token_f32ILb0ELm128ELm3ELl32EEvPKfS1_S1_iiiiPfiiil.num_named_barrier, 0
	.set _ZL23ssm_conv_long_token_f32ILb0ELm128ELm3ELl32EEvPKfS1_S1_iiiiPfiiil.private_seg_size, 0
	.set _ZL23ssm_conv_long_token_f32ILb0ELm128ELm3ELl32EEvPKfS1_S1_iiiiPfiiil.uses_vcc, 1
	.set _ZL23ssm_conv_long_token_f32ILb0ELm128ELm3ELl32EEvPKfS1_S1_iiiiPfiiil.uses_flat_scratch, 0
	.set _ZL23ssm_conv_long_token_f32ILb0ELm128ELm3ELl32EEvPKfS1_S1_iiiiPfiiil.has_dyn_sized_stack, 0
	.set _ZL23ssm_conv_long_token_f32ILb0ELm128ELm3ELl32EEvPKfS1_S1_iiiiPfiiil.has_recursion, 0
	.set _ZL23ssm_conv_long_token_f32ILb0ELm128ELm3ELl32EEvPKfS1_S1_iiiiPfiiil.has_indirect_call, 0
	.section	.AMDGPU.csdata,"",@progbits
; Kernel info:
; codeLenInByte = 4792
; TotalNumSgprs: 28
; NumVgprs: 12
; ScratchSize: 0
; MemoryBound: 0
; FloatMode: 240
; IeeeMode: 1
; LDSByteSize: 0 bytes/workgroup (compile time only)
; SGPRBlocks: 3
; VGPRBlocks: 2
; NumSGPRsForWavesPerEU: 28
; NumVGPRsForWavesPerEU: 12
; Occupancy: 10
; WaveLimiterHint : 0
; COMPUTE_PGM_RSRC2:SCRATCH_EN: 0
; COMPUTE_PGM_RSRC2:USER_SGPR: 6
; COMPUTE_PGM_RSRC2:TRAP_HANDLER: 0
; COMPUTE_PGM_RSRC2:TGID_X_EN: 1
; COMPUTE_PGM_RSRC2:TGID_Y_EN: 1
; COMPUTE_PGM_RSRC2:TGID_Z_EN: 1
; COMPUTE_PGM_RSRC2:TIDIG_COMP_CNT: 0
	.section	.text._ZL12ssm_conv_f32ILb0ELm128ELm4EEvPKfS1_S1_iiiiPfiiil,"axG",@progbits,_ZL12ssm_conv_f32ILb0ELm128ELm4EEvPKfS1_S1_iiiiPfiiil,comdat
	.globl	_ZL12ssm_conv_f32ILb0ELm128ELm4EEvPKfS1_S1_iiiiPfiiil ; -- Begin function _ZL12ssm_conv_f32ILb0ELm128ELm4EEvPKfS1_S1_iiiiPfiiil
	.p2align	8
	.type	_ZL12ssm_conv_f32ILb0ELm128ELm4EEvPKfS1_S1_iiiiPfiiil,@function
_ZL12ssm_conv_f32ILb0ELm128ELm4EEvPKfS1_S1_iiiiPfiiil: ; @_ZL12ssm_conv_f32ILb0ELm128ELm4EEvPKfS1_S1_iiiiPfiiil
; %bb.0:
	s_load_dwordx4 s[8:11], s[4:5], 0x1c
	s_load_dwordx4 s[0:3], s[4:5], 0x0
	s_load_dwordx2 s[12:13], s[4:5], 0x10
	s_mov_b32 s14, s7
	s_ashr_i32 s15, s7, 31
	s_lshl_b64 s[16:17], s[14:15], 7
	s_waitcnt lgkmcnt(0)
	s_ashr_i32 s7, s10, 31
	s_mul_i32 s7, s16, s7
	s_mul_hi_u32 s11, s16, s10
	s_lshr_b64 s[14:15], s[14:15], 25
	s_add_i32 s7, s11, s7
	s_mul_i32 s11, s14, s10
	s_add_i32 s11, s7, s11
	s_mul_i32 s7, s16, s10
	s_add_u32 s7, s2, s7
	s_addc_u32 s11, s3, s11
	s_cmp_eq_u64 s[12:13], 0
	v_lshlrev_b32_e32 v10, 2, v0
	s_cbranch_scc1 .LBB12_2
; %bb.1:
	s_lshl_b64 s[2:3], s[16:17], 2
	s_add_u32 s2, s12, s2
	s_addc_u32 s3, s13, s3
	global_load_dword v12, v10, s[2:3]
	s_load_dwordx2 s[2:3], s[4:5], 0x40
	s_waitcnt lgkmcnt(0)
	v_cmp_lt_i64_e64 s[12:13], s[2:3], 1
	s_and_b64 vcc, exec, s[12:13]
	s_cbranch_vccz .LBB12_3
	s_branch .LBB12_6
.LBB12_2:
	v_mov_b32_e32 v12, 0
	s_load_dwordx2 s[2:3], s[4:5], 0x40
	s_waitcnt lgkmcnt(0)
	v_cmp_lt_i64_e64 s[12:13], s[2:3], 1
	s_and_b64 vcc, exec, s[12:13]
	s_cbranch_vccnz .LBB12_6
.LBB12_3:
	s_ashr_i32 s10, s10, 2
	v_mul_lo_u32 v1, s10, v0
	v_mov_b32_e32 v3, s11
	s_load_dwordx2 s[10:11], s[4:5], 0x28
	s_load_dwordx4 s[12:15], s[4:5], 0x30
	s_ashr_i32 s4, s8, 31
	s_mul_hi_u32 s5, s16, s8
	s_mul_i32 s4, s16, s4
	s_add_i32 s4, s5, s4
	s_mul_i32 s5, s17, s8
	s_mul_i32 s9, s9, s6
	s_add_i32 s18, s4, s5
	s_waitcnt lgkmcnt(0)
	s_mul_i32 s4, s14, s6
	s_ashr_i32 s15, s9, 31
	s_ashr_i32 s5, s4, 31
	s_add_u32 s6, s10, s4
	s_addc_u32 s20, s11, s5
	s_ashr_i32 s14, s12, 31
	s_mul_hi_u32 s21, s16, s12
	s_mul_i32 s14, s16, s14
	s_add_i32 s14, s21, s14
	s_mul_i32 s17, s17, s12
	s_add_i32 s14, s14, s17
	s_mul_i32 s12, s16, s12
	s_mul_i32 s19, s16, s8
	s_add_u32 s16, s6, s12
	s_addc_u32 s17, s20, s14
	s_add_u32 s6, s0, s9
	s_addc_u32 s20, s1, s15
	;; [unrolled: 2-line block ×3, first 2 shown]
	s_ashr_i32 s8, s8, 2
	v_mul_lo_u32 v4, s8, v0
	v_ashrrev_i32_e32 v2, 31, v1
	v_lshlrev_b64 v[1:2], 2, v[1:2]
	s_cmp_eq_u64 s[2:3], 1
	v_ashrrev_i32_e32 v5, 31, v4
	v_add_co_u32_e32 v0, vcc, s7, v1
	v_lshlrev_b64 v[8:9], 2, v[4:5]
	v_addc_co_u32_e32 v1, vcc, v3, v2, vcc
	v_mov_b32_e32 v5, s20
	v_add_co_u32_e32 v4, vcc, s6, v8
	v_addc_co_u32_e32 v5, vcc, v5, v9, vcc
	global_load_dwordx4 v[0:3], v[0:1], off
	s_nop 0
	global_load_dwordx4 v[4:7], v[4:5], off
	s_waitcnt vmcnt(0)
	v_fma_f32 v11, v0, v4, 0
	v_fmac_f32_e32 v11, v1, v5
	v_fmac_f32_e32 v11, v2, v6
	v_fmac_f32_e32 v11, v3, v7
	v_add_f32_e32 v11, v12, v11
	global_store_dword v10, v11, s[16:17]
	s_cbranch_scc1 .LBB12_6
; %bb.4:
	s_ashr_i32 s16, s13, 2
	s_ashr_i32 s17, s16, 31
	s_add_u32 s6, s2, -1
	s_addc_u32 s7, s3, -1
	s_add_u32 s0, s0, s9
	s_addc_u32 s1, s1, s15
	s_add_u32 s0, s0, s19
	s_addc_u32 s1, s1, s18
	s_lshl_b64 s[8:9], s[16:17], 2
	v_add_co_u32_e32 v8, vcc, s0, v8
	s_add_u32 s0, s12, s8
	v_mov_b32_e32 v11, s1
	s_addc_u32 s1, s14, s9
	s_add_u32 s2, s10, s4
	v_addc_co_u32_e32 v9, vcc, v11, v9, vcc
	s_addc_u32 s3, s11, s5
	v_add_co_u32_e32 v8, vcc, 16, v8
	s_add_u32 s0, s2, s0
	v_addc_co_u32_e32 v9, vcc, 0, v9, vcc
	s_addc_u32 s1, s3, s1
	v_mov_b32_e32 v11, s1
	v_add_co_u32_e32 v10, vcc, s0, v10
	v_addc_co_u32_e32 v11, vcc, 0, v11, vcc
	s_mov_b64 s[10:11], 0
	v_mov_b32_e32 v13, s9
.LBB12_5:                               ; =>This Inner Loop Header: Depth=1
	global_load_dword v14, v[8:9], off
	s_add_u32 s12, s10, 1
	s_addc_u32 s13, s11, 0
	s_add_i32 s0, s10, 4
	v_add_co_u32_e32 v8, vcc, 4, v8
	s_and_b32 s4, s0, 3
	v_addc_co_u32_e32 v9, vcc, 0, v9, vcc
	s_cmp_eq_u32 s4, 3
	s_cselect_b64 vcc, -1, 0
	s_cmp_eq_u32 s4, 2
	s_cselect_b64 s[0:1], -1, 0
	s_cmp_eq_u32 s4, 1
	s_cselect_b64 s[2:3], -1, 0
	;; [unrolled: 2-line block ×3, first 2 shown]
	s_and_b32 s9, s12, 3
	s_cmp_eq_u32 s9, 1
	s_waitcnt vmcnt(0)
	v_cndmask_b32_e32 v7, v7, v14, vcc
	v_cndmask_b32_e64 v5, v5, v14, s[2:3]
	v_cndmask_b32_e64 v4, v4, v14, s[4:5]
	s_cselect_b64 vcc, -1, 0
	s_cmp_eq_u32 s9, 2
	v_cndmask_b32_e64 v6, v6, v14, s[0:1]
	v_cndmask_b32_e32 v15, v4, v5, vcc
	s_cselect_b64 vcc, -1, 0
	s_cmp_eq_u32 s9, 3
	v_cndmask_b32_e32 v15, v15, v6, vcc
	s_cselect_b64 vcc, -1, 0
	s_add_i32 s0, s10, 2
	s_and_b32 s0, s0, 3
	s_cmp_eq_u32 s0, 1
	v_cndmask_b32_e32 v15, v15, v7, vcc
	s_cselect_b64 vcc, -1, 0
	s_cmp_eq_u32 s0, 2
	v_cndmask_b32_e32 v16, v4, v5, vcc
	s_cselect_b64 vcc, -1, 0
	;; [unrolled: 3-line block ×3, first 2 shown]
	s_xor_b32 s0, s9, 2
	s_cmp_eq_u32 s0, 1
	v_fma_f32 v15, v0, v15, 0
	v_cndmask_b32_e32 v16, v16, v7, vcc
	s_cselect_b64 vcc, -1, 0
	s_cmp_eq_u32 s0, 2
	v_fmac_f32_e32 v15, v1, v16
	v_cndmask_b32_e32 v16, v4, v5, vcc
	s_cselect_b64 vcc, -1, 0
	s_cmp_eq_u32 s0, 3
	v_cndmask_b32_e32 v16, v16, v6, vcc
	s_cselect_b64 vcc, -1, 0
	v_cndmask_b32_e32 v16, v16, v7, vcc
	v_fmac_f32_e32 v15, v2, v16
	v_fmac_f32_e32 v15, v3, v14
	v_add_f32_e32 v14, v12, v15
	global_store_dword v[10:11], v14, off
	v_add_co_u32_e32 v10, vcc, s8, v10
	s_mov_b64 s[10:11], s[12:13]
	s_cmp_eq_u64 s[6:7], s[12:13]
	v_addc_co_u32_e32 v11, vcc, v11, v13, vcc
	s_cbranch_scc0 .LBB12_5
.LBB12_6:
	s_endpgm
	.section	.rodata,"a",@progbits
	.p2align	6, 0x0
	.amdhsa_kernel _ZL12ssm_conv_f32ILb0ELm128ELm4EEvPKfS1_S1_iiiiPfiiil
		.amdhsa_group_segment_fixed_size 0
		.amdhsa_private_segment_fixed_size 0
		.amdhsa_kernarg_size 72
		.amdhsa_user_sgpr_count 6
		.amdhsa_user_sgpr_private_segment_buffer 1
		.amdhsa_user_sgpr_dispatch_ptr 0
		.amdhsa_user_sgpr_queue_ptr 0
		.amdhsa_user_sgpr_kernarg_segment_ptr 1
		.amdhsa_user_sgpr_dispatch_id 0
		.amdhsa_user_sgpr_flat_scratch_init 0
		.amdhsa_user_sgpr_private_segment_size 0
		.amdhsa_uses_dynamic_stack 0
		.amdhsa_system_sgpr_private_segment_wavefront_offset 0
		.amdhsa_system_sgpr_workgroup_id_x 1
		.amdhsa_system_sgpr_workgroup_id_y 1
		.amdhsa_system_sgpr_workgroup_id_z 0
		.amdhsa_system_sgpr_workgroup_info 0
		.amdhsa_system_vgpr_workitem_id 0
		.amdhsa_next_free_vgpr 17
		.amdhsa_next_free_sgpr 22
		.amdhsa_reserve_vcc 1
		.amdhsa_reserve_flat_scratch 0
		.amdhsa_float_round_mode_32 0
		.amdhsa_float_round_mode_16_64 0
		.amdhsa_float_denorm_mode_32 3
		.amdhsa_float_denorm_mode_16_64 3
		.amdhsa_dx10_clamp 1
		.amdhsa_ieee_mode 1
		.amdhsa_fp16_overflow 0
		.amdhsa_exception_fp_ieee_invalid_op 0
		.amdhsa_exception_fp_denorm_src 0
		.amdhsa_exception_fp_ieee_div_zero 0
		.amdhsa_exception_fp_ieee_overflow 0
		.amdhsa_exception_fp_ieee_underflow 0
		.amdhsa_exception_fp_ieee_inexact 0
		.amdhsa_exception_int_div_zero 0
	.end_amdhsa_kernel
	.section	.text._ZL12ssm_conv_f32ILb0ELm128ELm4EEvPKfS1_S1_iiiiPfiiil,"axG",@progbits,_ZL12ssm_conv_f32ILb0ELm128ELm4EEvPKfS1_S1_iiiiPfiiil,comdat
.Lfunc_end12:
	.size	_ZL12ssm_conv_f32ILb0ELm128ELm4EEvPKfS1_S1_iiiiPfiiil, .Lfunc_end12-_ZL12ssm_conv_f32ILb0ELm128ELm4EEvPKfS1_S1_iiiiPfiiil
                                        ; -- End function
	.set _ZL12ssm_conv_f32ILb0ELm128ELm4EEvPKfS1_S1_iiiiPfiiil.num_vgpr, 17
	.set _ZL12ssm_conv_f32ILb0ELm128ELm4EEvPKfS1_S1_iiiiPfiiil.num_agpr, 0
	.set _ZL12ssm_conv_f32ILb0ELm128ELm4EEvPKfS1_S1_iiiiPfiiil.numbered_sgpr, 22
	.set _ZL12ssm_conv_f32ILb0ELm128ELm4EEvPKfS1_S1_iiiiPfiiil.num_named_barrier, 0
	.set _ZL12ssm_conv_f32ILb0ELm128ELm4EEvPKfS1_S1_iiiiPfiiil.private_seg_size, 0
	.set _ZL12ssm_conv_f32ILb0ELm128ELm4EEvPKfS1_S1_iiiiPfiiil.uses_vcc, 1
	.set _ZL12ssm_conv_f32ILb0ELm128ELm4EEvPKfS1_S1_iiiiPfiiil.uses_flat_scratch, 0
	.set _ZL12ssm_conv_f32ILb0ELm128ELm4EEvPKfS1_S1_iiiiPfiiil.has_dyn_sized_stack, 0
	.set _ZL12ssm_conv_f32ILb0ELm128ELm4EEvPKfS1_S1_iiiiPfiiil.has_recursion, 0
	.set _ZL12ssm_conv_f32ILb0ELm128ELm4EEvPKfS1_S1_iiiiPfiiil.has_indirect_call, 0
	.section	.AMDGPU.csdata,"",@progbits
; Kernel info:
; codeLenInByte = 812
; TotalNumSgprs: 26
; NumVgprs: 17
; ScratchSize: 0
; MemoryBound: 0
; FloatMode: 240
; IeeeMode: 1
; LDSByteSize: 0 bytes/workgroup (compile time only)
; SGPRBlocks: 3
; VGPRBlocks: 4
; NumSGPRsForWavesPerEU: 26
; NumVGPRsForWavesPerEU: 17
; Occupancy: 10
; WaveLimiterHint : 0
; COMPUTE_PGM_RSRC2:SCRATCH_EN: 0
; COMPUTE_PGM_RSRC2:USER_SGPR: 6
; COMPUTE_PGM_RSRC2:TRAP_HANDLER: 0
; COMPUTE_PGM_RSRC2:TGID_X_EN: 1
; COMPUTE_PGM_RSRC2:TGID_Y_EN: 1
; COMPUTE_PGM_RSRC2:TGID_Z_EN: 0
; COMPUTE_PGM_RSRC2:TIDIG_COMP_CNT: 0
	.section	.text._ZL23ssm_conv_long_token_f32ILb0ELm128ELm4ELl32EEvPKfS1_S1_iiiiPfiiil,"axG",@progbits,_ZL23ssm_conv_long_token_f32ILb0ELm128ELm4ELl32EEvPKfS1_S1_iiiiPfiiil,comdat
	.globl	_ZL23ssm_conv_long_token_f32ILb0ELm128ELm4ELl32EEvPKfS1_S1_iiiiPfiiil ; -- Begin function _ZL23ssm_conv_long_token_f32ILb0ELm128ELm4ELl32EEvPKfS1_S1_iiiiPfiiil
	.p2align	8
	.type	_ZL23ssm_conv_long_token_f32ILb0ELm128ELm4ELl32EEvPKfS1_S1_iiiiPfiiil,@function
_ZL23ssm_conv_long_token_f32ILb0ELm128ELm4ELl32EEvPKfS1_S1_iiiiPfiiil: ; @_ZL23ssm_conv_long_token_f32ILb0ELm128ELm4ELl32EEvPKfS1_S1_iiiiPfiiil
; %bb.0:
	s_load_dwordx2 s[12:13], s[4:5], 0x0
	s_load_dwordx4 s[0:3], s[4:5], 0x18
	s_mov_b32 s10, s7
	v_mul_u32_u24_e32 v1, 0x751, v0
	v_lshrrev_b32_e32 v4, 16, v1
	v_mul_lo_u16_e32 v1, 35, v4
	s_waitcnt lgkmcnt(0)
	s_mul_i32 s2, s2, s6
	s_ashr_i32 s7, s2, 31
	s_add_u32 s2, s12, s2
	s_addc_u32 s7, s13, s7
	s_ashr_i32 s11, s10, 31
	s_lshl_b64 s[12:13], s[10:11], 7
	s_ashr_i32 s9, s1, 31
	s_mul_i32 s9, s12, s9
	s_mul_hi_u32 s14, s12, s1
	s_lshr_b64 s[10:11], s[10:11], 25
	s_add_i32 s9, s14, s9
	s_mul_i32 s10, s10, s1
	s_add_i32 s9, s9, s10
	s_mul_i32 s10, s12, s1
	s_add_u32 s2, s2, s10
	s_addc_u32 s7, s7, s9
	s_ashr_i32 s9, s8, 31
	s_lshl_b64 s[14:15], s[8:9], 5
	s_ashr_i32 s10, s0, 31
	s_mul_i32 s10, s14, s10
	s_mul_hi_u32 s11, s14, s0
	s_lshr_b64 s[8:9], s[8:9], 27
	s_add_i32 s10, s11, s10
	s_mul_i32 s8, s8, s0
	s_add_i32 s10, s10, s8
	s_mul_i32 s0, s14, s0
	s_add_u32 s2, s2, s0
	s_addc_u32 s7, s7, s10
	s_ashr_i32 s20, s1, 2
	v_sub_u16_e32 v1, v0, v1
	v_mad_u64_u32 v[2:3], s[0:1], s20, v4, v[1:2]
	v_mov_b32_e32 v5, s7
	s_movk_i32 s9, 0x8c
	v_ashrrev_i32_e32 v3, 31, v2
	v_lshlrev_b64 v[2:3], 2, v[2:3]
	s_movk_i32 s8, 0x80
	v_add_co_u32_e32 v2, vcc, s2, v2
	v_addc_co_u32_e32 v3, vcc, v5, v3, vcc
	global_load_dword v2, v[2:3], off
	v_mul_u32_u24_e32 v3, 0x8c, v4
	v_lshlrev_b32_e32 v5, 2, v1
	v_add3_u32 v3, 0, v3, v5
	v_or_b32_e32 v1, 0x80, v1
	v_mov_b32_e32 v5, s7
	s_waitcnt vmcnt(0)
	ds_write_b32 v3, v2
	v_mul_lo_u16_e32 v2, 0xeb, v1
	v_lshrrev_b16_e32 v2, 13, v2
	v_add_u32_e32 v4, v4, v2
	v_mul_lo_u16_e32 v2, 35, v2
	v_sub_u16_e32 v1, v1, v2
	v_and_b32_e32 v1, 0xff, v1
	v_mad_u64_u32 v[2:3], s[0:1], v4, s20, v[1:2]
	v_ashrrev_i32_e32 v3, 31, v2
	v_lshlrev_b64 v[2:3], 2, v[2:3]
	v_add_co_u32_e32 v2, vcc, s2, v2
	v_addc_co_u32_e32 v3, vcc, v5, v3, vcc
	global_load_dword v2, v[2:3], off
	v_mul_u32_u24_e32 v3, 0x8c, v4
	v_lshlrev_b32_e32 v5, 2, v1
	v_add3_u32 v3, 0, v3, v5
	v_or_b32_e32 v1, 0x80, v1
	v_mov_b32_e32 v5, s7
	s_waitcnt vmcnt(0)
	ds_write_b32 v3, v2
	v_mul_lo_u16_e32 v2, 0xeb, v1
	v_lshrrev_b16_e32 v2, 13, v2
	v_add_u32_e32 v4, v4, v2
	v_mul_lo_u16_e32 v2, 35, v2
	v_sub_u16_e32 v1, v1, v2
	v_and_b32_e32 v1, 0xff, v1
	v_mad_u64_u32 v[2:3], s[0:1], v4, s20, v[1:2]
	v_ashrrev_i32_e32 v3, 31, v2
	v_lshlrev_b64 v[2:3], 2, v[2:3]
	;; [unrolled: 19-line block ×6, first 2 shown]
	v_add_co_u32_e32 v2, vcc, s2, v2
	v_addc_co_u32_e32 v3, vcc, v5, v3, vcc
	global_load_dword v2, v[2:3], off
	v_mul_lo_u32 v3, v4, s9
	v_lshlrev_b32_e32 v5, 2, v1
	v_or_b32_e32 v1, 0x80, v1
	v_add3_u32 v3, 0, v3, v5
	v_mov_b32_e32 v5, s7
	s_waitcnt vmcnt(0)
	ds_write_b32 v3, v2
	v_mul_lo_u16_e32 v2, 0xeb, v1
	v_lshrrev_b16_e32 v2, 13, v2
	v_add_u32_e32 v4, v4, v2
	v_mul_lo_u16_e32 v2, 35, v2
	v_sub_u16_e32 v1, v1, v2
	v_and_b32_e32 v1, 0xff, v1
	v_mad_u64_u32 v[2:3], s[0:1], v4, s20, v[1:2]
	v_ashrrev_i32_e32 v3, 31, v2
	v_lshlrev_b64 v[2:3], 2, v[2:3]
	v_add_co_u32_e32 v2, vcc, s2, v2
	v_addc_co_u32_e32 v3, vcc, v5, v3, vcc
	global_load_dword v2, v[2:3], off
	v_mul_lo_u32 v3, v4, s9
	v_lshlrev_b32_e32 v5, 2, v1
	v_or_b32_e32 v1, 0x80, v1
	v_add3_u32 v3, 0, v3, v5
	v_mov_b32_e32 v5, s7
	s_waitcnt vmcnt(0)
	ds_write_b32 v3, v2
	v_mul_lo_u16_e32 v2, 0xeb, v1
	v_lshrrev_b16_e32 v2, 13, v2
	v_add_u32_e32 v4, v4, v2
	v_mul_lo_u16_e32 v2, 35, v2
	v_sub_u16_e32 v1, v1, v2
	v_and_b32_e32 v1, 0xff, v1
	v_mad_u64_u32 v[2:3], s[0:1], v4, s20, v[1:2]
	v_ashrrev_i32_e32 v3, 31, v2
	v_lshlrev_b64 v[2:3], 2, v[2:3]
	;; [unrolled: 19-line block ×13, first 2 shown]
	v_add_co_u32_e32 v2, vcc, s2, v2
	v_addc_co_u32_e32 v3, vcc, v5, v3, vcc
	global_load_dword v2, v[2:3], off
	v_mul_lo_u32 v3, v4, s9
	v_lshlrev_b32_e32 v5, 2, v1
	v_or_b32_e32 v1, 0x80, v1
	v_add3_u32 v3, 0, v3, v5
	s_waitcnt vmcnt(0)
	ds_write_b32 v3, v2
	v_mul_lo_u16_e32 v2, 0xeb, v1
	v_lshrrev_b16_e32 v3, 13, v2
	v_add_u32_e32 v2, v4, v3
	v_mul_lo_u16_e32 v3, 35, v3
	v_sub_u16_e32 v1, v1, v3
	v_and_b32_e32 v1, 0xff, v1
	v_cmp_gt_u32_e32 vcc, s8, v2
	s_and_saveexec_b64 s[0:1], vcc
	s_cbranch_execz .LBB13_2
; %bb.1:
	v_mad_u64_u32 v[3:4], s[10:11], v2, s20, v[1:2]
	v_mov_b32_e32 v5, s7
	v_ashrrev_i32_e32 v4, 31, v3
	v_lshlrev_b64 v[3:4], 2, v[3:4]
	v_add_co_u32_e32 v3, vcc, s2, v3
	v_addc_co_u32_e32 v4, vcc, v5, v4, vcc
	global_load_dword v3, v[3:4], off
	v_mul_lo_u32 v4, v2, s9
	v_lshlrev_b32_e32 v5, 2, v1
	v_add3_u32 v4, 0, v4, v5
	s_waitcnt vmcnt(0)
	ds_write_b32 v4, v3
.LBB13_2:
	s_or_b64 exec, exec, s[0:1]
	v_or_b32_e32 v1, 0x80, v1
	v_mul_lo_u16_e32 v3, 0xeb, v1
	v_lshrrev_b16_e32 v3, 13, v3
	v_add_u32_e32 v2, v2, v3
	v_mul_lo_u16_e32 v3, 35, v3
	v_sub_u16_e32 v1, v1, v3
	v_and_b32_e32 v1, 0xff, v1
	v_cmp_gt_u32_e32 vcc, s8, v2
	s_and_saveexec_b64 s[0:1], vcc
	s_cbranch_execz .LBB13_4
; %bb.3:
	v_mad_u64_u32 v[3:4], s[8:9], v2, s20, v[1:2]
	v_mov_b32_e32 v5, s7
	s_movk_i32 s8, 0x8c
	v_ashrrev_i32_e32 v4, 31, v3
	v_lshlrev_b64 v[3:4], 2, v[3:4]
	v_add_co_u32_e32 v3, vcc, s2, v3
	v_addc_co_u32_e32 v4, vcc, v5, v4, vcc
	global_load_dword v3, v[3:4], off
	v_mul_lo_u32 v4, v2, s8
	v_lshlrev_b32_e32 v5, 2, v1
	v_add3_u32 v4, 0, v4, v5
	s_waitcnt vmcnt(0)
	ds_write_b32 v4, v3
.LBB13_4:
	s_or_b64 exec, exec, s[0:1]
	v_or_b32_e32 v1, 0x80, v1
	v_mul_lo_u16_e32 v3, 0xeb, v1
	v_lshrrev_b16_e32 v3, 13, v3
	v_add_u32_e32 v2, v2, v3
	v_mul_lo_u16_e32 v3, 35, v3
	s_movk_i32 s8, 0x80
	v_sub_u16_e32 v1, v1, v3
	v_and_b32_e32 v1, 0xff, v1
	v_cmp_gt_u32_e32 vcc, s8, v2
	s_and_saveexec_b64 s[0:1], vcc
	s_cbranch_execz .LBB13_6
; %bb.5:
	v_mad_u64_u32 v[3:4], s[10:11], v2, s20, v[1:2]
	v_mov_b32_e32 v5, s7
	s_movk_i32 s9, 0x8c
	v_ashrrev_i32_e32 v4, 31, v3
	v_lshlrev_b64 v[3:4], 2, v[3:4]
	v_add_co_u32_e32 v3, vcc, s2, v3
	v_addc_co_u32_e32 v4, vcc, v5, v4, vcc
	global_load_dword v3, v[3:4], off
	v_mul_lo_u32 v4, v2, s9
	v_lshlrev_b32_e32 v5, 2, v1
	v_add3_u32 v4, 0, v4, v5
	s_waitcnt vmcnt(0)
	ds_write_b32 v4, v3
.LBB13_6:
	s_or_b64 exec, exec, s[0:1]
	v_or_b32_e32 v1, 0x80, v1
	v_mul_lo_u16_e32 v3, 0xeb, v1
	v_lshrrev_b16_e32 v3, 13, v3
	v_add_u32_e32 v2, v2, v3
	v_mul_lo_u16_e32 v3, 35, v3
	v_sub_u16_e32 v1, v1, v3
	v_and_b32_e32 v1, 0xff, v1
	v_cmp_gt_u32_e32 vcc, s8, v2
	s_and_saveexec_b64 s[0:1], vcc
	s_cbranch_execz .LBB13_8
; %bb.7:
	v_mad_u64_u32 v[3:4], s[8:9], v2, s20, v[1:2]
	v_mov_b32_e32 v5, s7
	s_movk_i32 s8, 0x8c
	v_ashrrev_i32_e32 v4, 31, v3
	v_lshlrev_b64 v[3:4], 2, v[3:4]
	v_add_co_u32_e32 v3, vcc, s2, v3
	v_addc_co_u32_e32 v4, vcc, v5, v4, vcc
	global_load_dword v3, v[3:4], off
	v_mul_lo_u32 v4, v2, s8
	v_lshlrev_b32_e32 v5, 2, v1
	v_add3_u32 v4, 0, v4, v5
	s_waitcnt vmcnt(0)
	ds_write_b32 v4, v3
.LBB13_8:
	s_or_b64 exec, exec, s[0:1]
	v_or_b32_e32 v1, 0x80, v1
	v_mul_lo_u16_e32 v3, 0xeb, v1
	v_lshrrev_b16_e32 v3, 13, v3
	v_add_u32_e32 v2, v2, v3
	v_mul_lo_u16_e32 v3, 35, v3
	s_movk_i32 s8, 0x80
	v_sub_u16_e32 v1, v1, v3
	v_and_b32_e32 v1, 0xff, v1
	v_cmp_gt_u32_e32 vcc, s8, v2
	s_and_saveexec_b64 s[0:1], vcc
	s_cbranch_execz .LBB13_10
; %bb.9:
	v_mad_u64_u32 v[3:4], s[10:11], v2, s20, v[1:2]
	v_mov_b32_e32 v5, s7
	s_movk_i32 s9, 0x8c
	v_ashrrev_i32_e32 v4, 31, v3
	v_lshlrev_b64 v[3:4], 2, v[3:4]
	v_add_co_u32_e32 v3, vcc, s2, v3
	v_addc_co_u32_e32 v4, vcc, v5, v4, vcc
	global_load_dword v3, v[3:4], off
	v_mul_lo_u32 v4, v2, s9
	v_lshlrev_b32_e32 v5, 2, v1
	v_add3_u32 v4, 0, v4, v5
	s_waitcnt vmcnt(0)
	ds_write_b32 v4, v3
.LBB13_10:
	;; [unrolled: 53-line block ×3, first 2 shown]
	s_or_b64 exec, exec, s[0:1]
	v_or_b32_e32 v1, 0x80, v1
	v_mul_lo_u16_e32 v3, 0xeb, v1
	v_lshrrev_b16_e32 v3, 13, v3
	v_add_u32_e32 v2, v2, v3
	v_mul_lo_u16_e32 v3, 35, v3
	v_sub_u16_e32 v1, v1, v3
	v_and_b32_e32 v1, 0xff, v1
	v_cmp_gt_u32_e32 vcc, s8, v2
	s_and_saveexec_b64 s[0:1], vcc
	s_cbranch_execz .LBB13_16
; %bb.15:
	v_mad_u64_u32 v[3:4], s[8:9], v2, s20, v[1:2]
	v_mov_b32_e32 v5, s7
	s_movk_i32 s8, 0x8c
	v_ashrrev_i32_e32 v4, 31, v3
	v_lshlrev_b64 v[3:4], 2, v[3:4]
	v_add_co_u32_e32 v3, vcc, s2, v3
	v_addc_co_u32_e32 v4, vcc, v5, v4, vcc
	global_load_dword v3, v[3:4], off
	v_mul_lo_u32 v4, v2, s8
	v_lshlrev_b32_e32 v5, 2, v1
	v_add3_u32 v4, 0, v4, v5
	s_waitcnt vmcnt(0)
	ds_write_b32 v4, v3
.LBB13_16:
	s_or_b64 exec, exec, s[0:1]
	s_load_dwordx4 s[8:11], s[4:5], 0x8
	s_load_dwordx2 s[0:1], s[4:5], 0x28
	s_movk_i32 s16, 0x380
	v_cmp_gt_u32_e32 vcc, s16, v0
	s_and_saveexec_b64 s[16:17], vcc
	s_cbranch_execz .LBB13_37
; %bb.17:
	v_or_b32_e32 v1, 0x80, v1
	v_mul_lo_u16_e32 v3, 0xeb, v1
	v_lshrrev_b16_e32 v3, 13, v3
	v_add_u32_e32 v2, v2, v3
	v_mul_lo_u16_e32 v3, 35, v3
	s_movk_i32 s18, 0x80
	v_sub_u16_e32 v1, v1, v3
	v_and_b32_e32 v1, 0xff, v1
	v_cmp_gt_u32_e32 vcc, s18, v2
	s_and_saveexec_b64 s[18:19], vcc
	s_cbranch_execz .LBB13_19
; %bb.18:
	v_mad_u64_u32 v[3:4], s[22:23], v2, s20, v[1:2]
	v_mov_b32_e32 v5, s7
	s_movk_i32 s21, 0x8c
	v_ashrrev_i32_e32 v4, 31, v3
	v_lshlrev_b64 v[3:4], 2, v[3:4]
	v_add_co_u32_e32 v3, vcc, s2, v3
	v_addc_co_u32_e32 v4, vcc, v5, v4, vcc
	global_load_dword v3, v[3:4], off
	v_mul_lo_u32 v4, v2, s21
	v_lshlrev_b32_e32 v5, 2, v1
	v_add3_u32 v4, 0, v4, v5
	s_waitcnt vmcnt(0)
	ds_write_b32 v4, v3
.LBB13_19:
	s_or_b64 exec, exec, s[18:19]
	s_movk_i32 s18, 0x300
	v_cmp_gt_u32_e32 vcc, s18, v0
	s_and_b64 exec, exec, vcc
	s_cbranch_execz .LBB13_37
; %bb.20:
	v_or_b32_e32 v1, 0x80, v1
	v_mul_lo_u16_e32 v3, 0xeb, v1
	v_lshrrev_b16_e32 v3, 13, v3
	v_add_u32_e32 v2, v2, v3
	v_mul_lo_u16_e32 v3, 35, v3
	s_movk_i32 s18, 0x80
	v_sub_u16_e32 v1, v1, v3
	v_and_b32_e32 v1, 0xff, v1
	v_cmp_gt_u32_e32 vcc, s18, v2
	s_and_saveexec_b64 s[18:19], vcc
	s_cbranch_execz .LBB13_22
; %bb.21:
	v_mad_u64_u32 v[3:4], s[22:23], v2, s20, v[1:2]
	v_mov_b32_e32 v5, s7
	s_movk_i32 s21, 0x8c
	v_ashrrev_i32_e32 v4, 31, v3
	v_lshlrev_b64 v[3:4], 2, v[3:4]
	v_add_co_u32_e32 v3, vcc, s2, v3
	v_addc_co_u32_e32 v4, vcc, v5, v4, vcc
	global_load_dword v3, v[3:4], off
	v_mul_lo_u32 v4, v2, s21
	v_lshlrev_b32_e32 v5, 2, v1
	v_add3_u32 v4, 0, v4, v5
	s_waitcnt vmcnt(0)
	ds_write_b32 v4, v3
.LBB13_22:
	s_or_b64 exec, exec, s[18:19]
	s_movk_i32 s18, 0x280
	v_cmp_gt_u32_e32 vcc, s18, v0
	s_and_b64 exec, exec, vcc
	;; [unrolled: 32-line block ×5, first 2 shown]
	s_cbranch_execz .LBB13_37
; %bb.32:
	v_or_b32_e32 v1, 0x80, v1
	v_mul_lo_u16_e32 v3, 0xeb, v1
	v_lshrrev_b16_e32 v3, 13, v3
	v_add_u32_e32 v2, v2, v3
	v_mul_lo_u16_e32 v3, 35, v3
	s_movk_i32 s21, 0x80
	v_sub_u16_e32 v1, v1, v3
	v_and_b32_e32 v1, 0xff, v1
	v_cmp_gt_u32_e32 vcc, s21, v2
	s_and_saveexec_b64 s[18:19], vcc
	s_cbranch_execz .LBB13_34
; %bb.33:
	v_mad_u64_u32 v[3:4], s[22:23], v2, s20, v[1:2]
	v_mov_b32_e32 v5, s7
	s_movk_i32 s22, 0x8c
	v_ashrrev_i32_e32 v4, 31, v3
	v_lshlrev_b64 v[3:4], 2, v[3:4]
	v_add_co_u32_e32 v3, vcc, s2, v3
	v_addc_co_u32_e32 v4, vcc, v5, v4, vcc
	global_load_dword v3, v[3:4], off
	v_mul_lo_u32 v4, v2, s22
	v_lshlrev_b32_e32 v5, 2, v1
	v_add3_u32 v4, 0, v4, v5
	s_waitcnt vmcnt(0)
	ds_write_b32 v4, v3
.LBB13_34:
	s_or_b64 exec, exec, s[18:19]
	v_cmp_gt_u32_e32 vcc, s21, v0
	s_and_b64 exec, exec, vcc
	s_cbranch_execz .LBB13_37
; %bb.35:
	v_or_b32_e32 v3, 0x80, v1
	v_mul_lo_u16_e32 v1, 0xeb, v3
	v_lshrrev_b16_e32 v4, 13, v1
	s_movk_i32 s18, 0x80
	v_add_u32_e32 v1, v2, v4
	v_cmp_gt_u32_e32 vcc, s18, v1
	s_and_b64 exec, exec, vcc
	s_cbranch_execz .LBB13_37
; %bb.36:
	v_mul_lo_u16_e32 v2, 35, v4
	v_sub_u16_e32 v2, v3, v2
	v_and_b32_e32 v2, 0xff, v2
	v_mad_u64_u32 v[3:4], s[18:19], v1, s20, v[2:3]
	v_mov_b32_e32 v5, s7
	v_lshlrev_b32_e32 v2, 2, v2
	v_ashrrev_i32_e32 v4, 31, v3
	v_lshlrev_b64 v[3:4], 2, v[3:4]
	v_add_co_u32_e32 v3, vcc, s2, v3
	v_addc_co_u32_e32 v4, vcc, v5, v4, vcc
	global_load_dword v3, v[3:4], off
	s_movk_i32 s2, 0x8c
	v_mul_lo_u32 v1, v1, s2
	v_add3_u32 v1, 0, v1, v2
	s_waitcnt vmcnt(0)
	ds_write_b32 v1, v3
.LBB13_37:
	s_or_b64 exec, exec, s[16:17]
	s_ashr_i32 s2, s3, 31
	s_mul_hi_u32 s7, s12, s3
	s_mul_i32 s2, s12, s2
	s_add_i32 s2, s7, s2
	s_mul_i32 s7, s13, s3
	s_add_i32 s2, s2, s7
	s_mul_i32 s7, s12, s3
	s_waitcnt lgkmcnt(0)
	s_add_u32 s7, s8, s7
	s_addc_u32 s2, s9, s2
	s_ashr_i32 s3, s3, 2
	v_mul_lo_u32 v1, s3, v0
	v_mov_b32_e32 v3, s2
	s_barrier
	v_ashrrev_i32_e32 v2, 31, v1
	v_lshlrev_b64 v[1:2], 2, v[1:2]
	v_add_co_u32_e32 v1, vcc, s7, v1
	v_addc_co_u32_e32 v2, vcc, v3, v2, vcc
	global_load_dwordx4 v[1:4], v[1:2], off
	s_cmp_eq_u64 s[10:11], 0
	v_lshlrev_b32_e32 v5, 2, v0
	s_cbranch_scc1 .LBB13_39
; %bb.38:
	s_lshl_b64 s[2:3], s[12:13], 2
	s_add_u32 s2, s10, s2
	s_addc_u32 s3, s11, s3
	global_load_dword v9, v5, s[2:3]
	s_branch .LBB13_40
.LBB13_39:
	v_mov_b32_e32 v9, 0
.LBB13_40:
	s_load_dwordx2 s[2:3], s[4:5], 0x40
	s_waitcnt lgkmcnt(0)
	s_sub_u32 s2, s2, s14
	s_subb_u32 s3, s3, s15
	v_cmp_lt_i64_e64 s[8:9], s[2:3], 1
	s_and_b64 vcc, exec, s[8:9]
	s_cbranch_vccnz .LBB13_43
; %bb.41:
	s_load_dwordx4 s[8:11], s[4:5], 0x30
	s_waitcnt lgkmcnt(0)
	s_mul_i32 s4, s10, s6
	s_ashr_i32 s10, s4, 31
	s_add_u32 s0, s0, s4
	s_addc_u32 s1, s1, s10
	s_ashr_i32 s4, s9, 31
	s_mul_hi_u32 s5, s14, s9
	s_mul_i32 s4, s14, s4
	s_mul_i32 s6, s15, s9
	s_add_i32 s4, s5, s4
	s_mul_i32 s7, s14, s9
	s_add_i32 s4, s4, s6
	s_add_u32 s0, s0, s7
	s_addc_u32 s1, s1, s4
	s_ashr_i32 s4, s8, 31
	s_mul_hi_u32 s5, s12, s8
	s_mul_i32 s4, s12, s4
	s_add_i32 s4, s5, s4
	s_mul_i32 s5, s13, s8
	s_add_i32 s4, s4, s5
	s_mul_i32 s5, s12, s8
	s_add_u32 s6, s0, s5
	s_addc_u32 s0, s1, s4
	s_movk_i32 s1, 0x8c
	v_mad_u32_u24 v0, v0, s1, 0
	s_ashr_i32 s4, s9, 2
	v_mov_b32_e32 v6, s0
	v_cmp_lt_u64_e64 s[0:1], s[2:3], 32
	ds_read_b32 v7, v0
	s_ashr_i32 s5, s4, 31
	s_and_b64 s[0:1], s[0:1], exec
	v_add_co_u32_e32 v5, vcc, s6, v5
	s_cselect_b32 s1, s3, 0
	s_cselect_b32 s0, s2, 32
	s_lshl_b64 s[2:3], s[4:5], 2
	v_addc_co_u32_e32 v6, vcc, 0, v6, vcc
	v_mov_b32_e32 v10, s3
	s_waitcnt vmcnt(0)
.LBB13_42:                              ; =>This Inner Loop Header: Depth=1
	s_waitcnt lgkmcnt(0)
	v_fma_f32 v11, v1, v7, 0
	ds_read2_b32 v[7:8], v0 offset0:1 offset1:2
	ds_read_b32 v13, v0 offset:12
	s_add_u32 s0, s0, -1
	v_add_u32_e32 v12, 4, v0
	s_addc_u32 s1, s1, -1
	s_waitcnt lgkmcnt(1)
	v_fmac_f32_e32 v11, v2, v7
	v_fmac_f32_e32 v11, v3, v8
	s_waitcnt lgkmcnt(0)
	v_fmac_f32_e32 v11, v4, v13
	v_add_f32_e32 v8, v9, v11
	global_store_dword v[5:6], v8, off
	v_add_co_u32_e32 v5, vcc, s2, v5
	v_mov_b32_e32 v0, v12
	s_cmp_lg_u64 s[0:1], 0
	v_addc_co_u32_e32 v6, vcc, v6, v10, vcc
	s_cbranch_scc1 .LBB13_42
.LBB13_43:
	s_endpgm
	.section	.rodata,"a",@progbits
	.p2align	6, 0x0
	.amdhsa_kernel _ZL23ssm_conv_long_token_f32ILb0ELm128ELm4ELl32EEvPKfS1_S1_iiiiPfiiil
		.amdhsa_group_segment_fixed_size 0
		.amdhsa_private_segment_fixed_size 0
		.amdhsa_kernarg_size 72
		.amdhsa_user_sgpr_count 6
		.amdhsa_user_sgpr_private_segment_buffer 1
		.amdhsa_user_sgpr_dispatch_ptr 0
		.amdhsa_user_sgpr_queue_ptr 0
		.amdhsa_user_sgpr_kernarg_segment_ptr 1
		.amdhsa_user_sgpr_dispatch_id 0
		.amdhsa_user_sgpr_flat_scratch_init 0
		.amdhsa_user_sgpr_private_segment_size 0
		.amdhsa_uses_dynamic_stack 0
		.amdhsa_system_sgpr_private_segment_wavefront_offset 0
		.amdhsa_system_sgpr_workgroup_id_x 1
		.amdhsa_system_sgpr_workgroup_id_y 1
		.amdhsa_system_sgpr_workgroup_id_z 1
		.amdhsa_system_sgpr_workgroup_info 0
		.amdhsa_system_vgpr_workitem_id 0
		.amdhsa_next_free_vgpr 14
		.amdhsa_next_free_sgpr 24
		.amdhsa_reserve_vcc 1
		.amdhsa_reserve_flat_scratch 0
		.amdhsa_float_round_mode_32 0
		.amdhsa_float_round_mode_16_64 0
		.amdhsa_float_denorm_mode_32 3
		.amdhsa_float_denorm_mode_16_64 3
		.amdhsa_dx10_clamp 1
		.amdhsa_ieee_mode 1
		.amdhsa_fp16_overflow 0
		.amdhsa_exception_fp_ieee_invalid_op 0
		.amdhsa_exception_fp_denorm_src 0
		.amdhsa_exception_fp_ieee_div_zero 0
		.amdhsa_exception_fp_ieee_overflow 0
		.amdhsa_exception_fp_ieee_underflow 0
		.amdhsa_exception_fp_ieee_inexact 0
		.amdhsa_exception_int_div_zero 0
	.end_amdhsa_kernel
	.section	.text._ZL23ssm_conv_long_token_f32ILb0ELm128ELm4ELl32EEvPKfS1_S1_iiiiPfiiil,"axG",@progbits,_ZL23ssm_conv_long_token_f32ILb0ELm128ELm4ELl32EEvPKfS1_S1_iiiiPfiiil,comdat
.Lfunc_end13:
	.size	_ZL23ssm_conv_long_token_f32ILb0ELm128ELm4ELl32EEvPKfS1_S1_iiiiPfiiil, .Lfunc_end13-_ZL23ssm_conv_long_token_f32ILb0ELm128ELm4ELl32EEvPKfS1_S1_iiiiPfiiil
                                        ; -- End function
	.set _ZL23ssm_conv_long_token_f32ILb0ELm128ELm4ELl32EEvPKfS1_S1_iiiiPfiiil.num_vgpr, 14
	.set _ZL23ssm_conv_long_token_f32ILb0ELm128ELm4ELl32EEvPKfS1_S1_iiiiPfiiil.num_agpr, 0
	.set _ZL23ssm_conv_long_token_f32ILb0ELm128ELm4ELl32EEvPKfS1_S1_iiiiPfiiil.numbered_sgpr, 24
	.set _ZL23ssm_conv_long_token_f32ILb0ELm128ELm4ELl32EEvPKfS1_S1_iiiiPfiiil.num_named_barrier, 0
	.set _ZL23ssm_conv_long_token_f32ILb0ELm128ELm4ELl32EEvPKfS1_S1_iiiiPfiiil.private_seg_size, 0
	.set _ZL23ssm_conv_long_token_f32ILb0ELm128ELm4ELl32EEvPKfS1_S1_iiiiPfiiil.uses_vcc, 1
	.set _ZL23ssm_conv_long_token_f32ILb0ELm128ELm4ELl32EEvPKfS1_S1_iiiiPfiiil.uses_flat_scratch, 0
	.set _ZL23ssm_conv_long_token_f32ILb0ELm128ELm4ELl32EEvPKfS1_S1_iiiiPfiiil.has_dyn_sized_stack, 0
	.set _ZL23ssm_conv_long_token_f32ILb0ELm128ELm4ELl32EEvPKfS1_S1_iiiiPfiiil.has_recursion, 0
	.set _ZL23ssm_conv_long_token_f32ILb0ELm128ELm4ELl32EEvPKfS1_S1_iiiiPfiiil.has_indirect_call, 0
	.section	.AMDGPU.csdata,"",@progbits
; Kernel info:
; codeLenInByte = 4940
; TotalNumSgprs: 28
; NumVgprs: 14
; ScratchSize: 0
; MemoryBound: 0
; FloatMode: 240
; IeeeMode: 1
; LDSByteSize: 0 bytes/workgroup (compile time only)
; SGPRBlocks: 3
; VGPRBlocks: 3
; NumSGPRsForWavesPerEU: 28
; NumVGPRsForWavesPerEU: 14
; Occupancy: 10
; WaveLimiterHint : 0
; COMPUTE_PGM_RSRC2:SCRATCH_EN: 0
; COMPUTE_PGM_RSRC2:USER_SGPR: 6
; COMPUTE_PGM_RSRC2:TRAP_HANDLER: 0
; COMPUTE_PGM_RSRC2:TGID_X_EN: 1
; COMPUTE_PGM_RSRC2:TGID_Y_EN: 1
; COMPUTE_PGM_RSRC2:TGID_Z_EN: 1
; COMPUTE_PGM_RSRC2:TIDIG_COMP_CNT: 0
	.section	.text._ZL12ssm_conv_f32ILb0ELm128ELm5EEvPKfS1_S1_iiiiPfiiil,"axG",@progbits,_ZL12ssm_conv_f32ILb0ELm128ELm5EEvPKfS1_S1_iiiiPfiiil,comdat
	.globl	_ZL12ssm_conv_f32ILb0ELm128ELm5EEvPKfS1_S1_iiiiPfiiil ; -- Begin function _ZL12ssm_conv_f32ILb0ELm128ELm5EEvPKfS1_S1_iiiiPfiiil
	.p2align	8
	.type	_ZL12ssm_conv_f32ILb0ELm128ELm5EEvPKfS1_S1_iiiiPfiiil,@function
_ZL12ssm_conv_f32ILb0ELm128ELm5EEvPKfS1_S1_iiiiPfiiil: ; @_ZL12ssm_conv_f32ILb0ELm128ELm5EEvPKfS1_S1_iiiiPfiiil
; %bb.0:
	s_load_dwordx4 s[8:11], s[4:5], 0x1c
	s_load_dwordx4 s[0:3], s[4:5], 0x0
	s_load_dwordx2 s[12:13], s[4:5], 0x10
	s_mov_b32 s14, s7
	s_ashr_i32 s15, s7, 31
	s_lshl_b64 s[18:19], s[14:15], 7
	s_waitcnt lgkmcnt(0)
	s_ashr_i32 s7, s10, 31
	s_mul_i32 s7, s18, s7
	s_mul_hi_u32 s11, s18, s10
	s_lshr_b64 s[14:15], s[14:15], 25
	s_add_i32 s7, s11, s7
	s_mul_i32 s11, s14, s10
	s_add_i32 s11, s7, s11
	s_mul_i32 s7, s18, s10
	s_add_u32 s7, s2, s7
	s_addc_u32 s11, s3, s11
	s_cmp_eq_u64 s[12:13], 0
	v_lshlrev_b32_e32 v10, 2, v0
	s_cbranch_scc1 .LBB14_2
; %bb.1:
	s_lshl_b64 s[2:3], s[18:19], 2
	s_add_u32 s2, s12, s2
	s_addc_u32 s3, s13, s3
	global_load_dword v12, v10, s[2:3]
	s_load_dwordx2 s[2:3], s[4:5], 0x40
	s_waitcnt lgkmcnt(0)
	v_cmp_lt_i64_e64 s[12:13], s[2:3], 1
	s_and_b64 vcc, exec, s[12:13]
	s_cbranch_vccz .LBB14_3
	s_branch .LBB14_6
.LBB14_2:
	v_mov_b32_e32 v12, 0
	s_load_dwordx2 s[2:3], s[4:5], 0x40
	s_waitcnt lgkmcnt(0)
	v_cmp_lt_i64_e64 s[12:13], s[2:3], 1
	s_and_b64 vcc, exec, s[12:13]
	s_cbranch_vccnz .LBB14_6
.LBB14_3:
	s_load_dwordx2 s[16:17], s[4:5], 0x28
	s_load_dwordx4 s[12:15], s[4:5], 0x30
	s_ashr_i32 s4, s8, 31
	s_mul_hi_u32 s5, s18, s8
	s_mul_i32 s4, s18, s4
	s_ashr_i32 s10, s10, 2
	s_add_i32 s4, s5, s4
	s_mul_i32 s5, s19, s8
	v_mul_lo_u32 v1, s10, v0
	s_mul_i32 s10, s9, s6
	s_waitcnt lgkmcnt(0)
	s_add_i32 s15, s4, s5
	s_mul_i32 s4, s14, s6
	v_mov_b32_e32 v3, s11
	s_ashr_i32 s11, s10, 31
	s_ashr_i32 s5, s4, 31
	s_add_u32 s9, s16, s4
	s_addc_u32 s14, s17, s5
	s_ashr_i32 s6, s12, 31
	s_mul_hi_u32 s21, s18, s12
	s_mul_i32 s6, s18, s6
	s_add_i32 s6, s21, s6
	s_mul_i32 s19, s19, s12
	s_add_i32 s6, s6, s19
	s_mul_i32 s12, s18, s12
	s_mul_i32 s20, s18, s8
	s_add_u32 s18, s9, s12
	s_addc_u32 s19, s14, s6
	s_add_u32 s9, s0, s10
	s_addc_u32 s14, s1, s11
	;; [unrolled: 2-line block ×3, first 2 shown]
	s_ashr_i32 s8, s8, 2
	v_mul_lo_u32 v4, s8, v0
	v_ashrrev_i32_e32 v2, 31, v1
	v_lshlrev_b64 v[1:2], 2, v[1:2]
	s_cmp_eq_u64 s[2:3], 1
	v_ashrrev_i32_e32 v5, 31, v4
	v_add_co_u32_e32 v15, vcc, s7, v1
	v_lshlrev_b64 v[8:9], 2, v[4:5]
	v_addc_co_u32_e32 v16, vcc, v3, v2, vcc
	global_load_dwordx4 v[0:3], v[15:16], off
	v_mov_b32_e32 v4, s14
	v_add_co_u32_e32 v17, vcc, s9, v8
	v_addc_co_u32_e32 v18, vcc, v4, v9, vcc
	global_load_dwordx4 v[4:7], v[17:18], off
	global_load_dword v13, v[17:18], off offset:16
	global_load_dword v14, v[15:16], off offset:16
	s_waitcnt vmcnt(2)
	v_fma_f32 v11, v0, v4, 0
	v_fmac_f32_e32 v11, v1, v5
	v_fmac_f32_e32 v11, v2, v6
	;; [unrolled: 1-line block ×3, first 2 shown]
	s_waitcnt vmcnt(0)
	v_fmac_f32_e32 v11, v14, v13
	v_add_f32_e32 v11, v12, v11
	global_store_dword v10, v11, s[18:19]
	s_cbranch_scc1 .LBB14_6
; %bb.4:
	s_ashr_i32 s18, s13, 2
	s_ashr_i32 s19, s18, 31
	s_add_u32 s8, s2, -1
	s_addc_u32 s9, s3, -1
	s_add_u32 s0, s0, s10
	s_addc_u32 s1, s1, s11
	s_add_u32 s0, s0, s20
	s_addc_u32 s1, s1, s15
	s_lshl_b64 s[10:11], s[18:19], 2
	v_add_co_u32_e32 v8, vcc, s0, v8
	s_add_u32 s0, s12, s10
	v_mov_b32_e32 v11, s1
	s_addc_u32 s1, s6, s11
	s_add_u32 s2, s16, s4
	v_addc_co_u32_e32 v9, vcc, v11, v9, vcc
	s_addc_u32 s3, s17, s5
	v_add_co_u32_e32 v8, vcc, 20, v8
	s_add_u32 s0, s2, s0
	v_addc_co_u32_e32 v9, vcc, 0, v9, vcc
	s_addc_u32 s1, s3, s1
	v_mov_b32_e32 v11, s1
	v_add_co_u32_e32 v10, vcc, s0, v10
	v_addc_co_u32_e32 v11, vcc, 0, v11, vcc
	s_mov_b64 s[12:13], 1
	s_mov_b64 s[14:15], 5
	;; [unrolled: 1-line block ×6, first 2 shown]
.LBB14_5:                               ; =>This Inner Loop Header: Depth=1
	global_load_dword v15, v[8:9], off
	s_mul_i32 s3, s13, 0xcccccccd
	s_mul_hi_u32 s4, s12, 0xcccccccd
	s_mul_hi_u32 s2, s13, 0xcccccccd
	s_add_u32 s3, s3, s4
	s_mul_i32 s1, s12, 0xcccccccc
	s_addc_u32 s2, s2, 0
	s_mul_hi_u32 s0, s12, 0xcccccccc
	s_add_u32 s1, s1, s3
	s_addc_u32 s0, s0, 0
	s_add_u32 s0, s2, s0
	s_mul_i32 s6, s13, 0xcccccccc
	s_addc_u32 s1, 0, 0
	s_mul_hi_u32 s5, s13, 0xcccccccc
	s_add_u32 s0, s6, s0
	s_addc_u32 s1, s5, s1
	s_lshr_b64 s[0:1], s[0:1], 2
	s_mul_i32 s0, s0, 5
	s_mul_i32 s26, s15, 0xcccccccd
	s_mul_hi_u32 s27, s14, 0xcccccccd
	s_sub_i32 s59, s12, s0
	s_mul_hi_u32 s25, s15, 0xcccccccd
	s_add_u32 s0, s26, s27
	s_mul_i32 s24, s14, 0xcccccccc
	s_addc_u32 s1, s25, 0
	s_mul_hi_u32 s7, s14, 0xcccccccc
	s_add_u32 s0, s24, s0
	s_addc_u32 s0, s7, 0
	s_add_u32 s0, s1, s0
	s_mul_i32 s29, s15, 0xcccccccc
	s_addc_u32 s1, 0, 0
	s_mul_hi_u32 s28, s15, 0xcccccccc
	s_add_u32 s0, s29, s0
	s_addc_u32 s1, s28, s1
	s_lshr_b64 s[0:1], s[0:1], 2
	s_mul_i32 s0, s0, 5
	s_mul_i32 s34, s17, 0xcccccccd
	s_mul_hi_u32 s35, s16, 0xcccccccd
	s_sub_i32 s24, s14, s0
	;; [unrolled: 18-line block ×5, first 2 shown]
	s_mul_hi_u32 s54, s23, 0xcccccccd
	s_add_u32 s0, s55, s56
	s_mul_i32 s53, s22, 0xcccccccc
	s_addc_u32 s1, s54, 0
	s_mul_hi_u32 s52, s22, 0xcccccccc
	s_add_u32 s0, s53, s0
	s_addc_u32 s0, s52, 0
	s_add_u32 s0, s1, s0
	s_mul_i32 s58, s23, 0xcccccccc
	s_addc_u32 s1, 0, 0
	s_mul_hi_u32 s57, s23, 0xcccccccc
	s_add_u32 s0, s58, s0
	s_addc_u32 s1, s57, s1
	s_lshr_b64 s[0:1], s[0:1], 2
	s_mul_i32 s0, s0, 5
	v_add_co_u32_e32 v8, vcc, 4, v8
	s_sub_i32 s6, s22, s0
	v_addc_co_u32_e32 v9, vcc, 0, v9, vcc
	s_cmp_eq_u32 s6, 4
	s_cselect_b64 vcc, -1, 0
	s_cmp_eq_u32 s6, 3
	s_cselect_b64 s[0:1], -1, 0
	s_cmp_eq_u32 s6, 2
	s_cselect_b64 s[2:3], -1, 0
	;; [unrolled: 2-line block ×4, first 2 shown]
	s_cmp_eq_u32 s59, 1
	s_waitcnt vmcnt(0)
	v_cndmask_b32_e32 v13, v13, v15, vcc
	v_cndmask_b32_e64 v5, v5, v15, s[4:5]
	v_cndmask_b32_e64 v4, v4, v15, s[6:7]
	s_cselect_b64 vcc, -1, 0
	s_cmp_eq_u32 s59, 2
	v_cndmask_b32_e64 v7, v7, v15, s[0:1]
	v_cndmask_b32_e64 v6, v6, v15, s[2:3]
	v_cndmask_b32_e32 v15, v4, v5, vcc
	s_cselect_b64 vcc, -1, 0
	s_cmp_eq_u32 s59, 3
	v_cndmask_b32_e32 v15, v15, v6, vcc
	s_cselect_b64 vcc, -1, 0
	s_cmp_eq_u32 s59, 4
	v_cndmask_b32_e32 v15, v15, v7, vcc
	s_cselect_b64 vcc, -1, 0
	s_add_u32 s12, s12, 1
	s_addc_u32 s13, s13, 0
	s_cmp_eq_u32 s27, 1
	v_cndmask_b32_e32 v15, v15, v13, vcc
	s_cselect_b64 vcc, -1, 0
	s_cmp_eq_u32 s27, 2
	v_cndmask_b32_e32 v17, v4, v5, vcc
	s_cselect_b64 vcc, -1, 0
	s_cmp_eq_u32 s27, 3
	v_cndmask_b32_e32 v17, v17, v6, vcc
	s_cselect_b64 vcc, -1, 0
	s_cmp_eq_u32 s27, 4
	v_cndmask_b32_e32 v17, v17, v7, vcc
	s_cselect_b64 vcc, -1, 0
	s_cmp_eq_u32 s26, 1
	v_fma_f32 v15, v0, v15, 0
	v_cndmask_b32_e32 v17, v17, v13, vcc
	s_cselect_b64 vcc, -1, 0
	s_cmp_eq_u32 s26, 2
	v_fmac_f32_e32 v15, v1, v17
	v_cndmask_b32_e32 v17, v4, v5, vcc
	s_cselect_b64 vcc, -1, 0
	s_cmp_eq_u32 s26, 3
	v_cndmask_b32_e32 v17, v17, v6, vcc
	s_cselect_b64 vcc, -1, 0
	s_cmp_eq_u32 s26, 4
	;; [unrolled: 3-line block ×4, first 2 shown]
	v_fmac_f32_e32 v15, v2, v17
	v_cndmask_b32_e32 v17, v4, v5, vcc
	s_cselect_b64 vcc, -1, 0
	s_cmp_eq_u32 s25, 3
	v_cndmask_b32_e32 v17, v17, v6, vcc
	s_cselect_b64 vcc, -1, 0
	s_cmp_eq_u32 s25, 4
	;; [unrolled: 3-line block ×4, first 2 shown]
	v_fmac_f32_e32 v15, v3, v17
	v_cndmask_b32_e32 v17, v4, v5, vcc
	s_cselect_b64 vcc, -1, 0
	s_cmp_eq_u32 s24, 3
	v_cndmask_b32_e32 v17, v17, v6, vcc
	s_cselect_b64 vcc, -1, 0
	s_cmp_eq_u32 s24, 4
	v_cndmask_b32_e32 v17, v17, v7, vcc
	s_cselect_b64 vcc, -1, 0
	s_add_u32 s14, s14, 1
	s_addc_u32 s15, s15, 0
	s_add_u32 s16, s16, 1
	s_addc_u32 s17, s17, 0
	;; [unrolled: 2-line block ×3, first 2 shown]
	s_add_u32 s8, s8, -1
	s_addc_u32 s9, s9, -1
	v_cndmask_b32_e32 v17, v17, v13, vcc
	s_add_u32 s20, s20, 1
	v_fmac_f32_e32 v15, v14, v17
	s_addc_u32 s21, s21, 0
	v_add_f32_e32 v15, v12, v15
	s_add_u32 s22, s22, 1
	v_mov_b32_e32 v16, s11
	global_store_dword v[10:11], v15, off
	v_add_co_u32_e32 v10, vcc, s10, v10
	s_addc_u32 s23, s23, 0
	s_cmp_eq_u64 s[8:9], 0
	v_addc_co_u32_e32 v11, vcc, v11, v16, vcc
	s_cbranch_scc0 .LBB14_5
.LBB14_6:
	s_endpgm
	.section	.rodata,"a",@progbits
	.p2align	6, 0x0
	.amdhsa_kernel _ZL12ssm_conv_f32ILb0ELm128ELm5EEvPKfS1_S1_iiiiPfiiil
		.amdhsa_group_segment_fixed_size 0
		.amdhsa_private_segment_fixed_size 0
		.amdhsa_kernarg_size 72
		.amdhsa_user_sgpr_count 6
		.amdhsa_user_sgpr_private_segment_buffer 1
		.amdhsa_user_sgpr_dispatch_ptr 0
		.amdhsa_user_sgpr_queue_ptr 0
		.amdhsa_user_sgpr_kernarg_segment_ptr 1
		.amdhsa_user_sgpr_dispatch_id 0
		.amdhsa_user_sgpr_flat_scratch_init 0
		.amdhsa_user_sgpr_private_segment_size 0
		.amdhsa_uses_dynamic_stack 0
		.amdhsa_system_sgpr_private_segment_wavefront_offset 0
		.amdhsa_system_sgpr_workgroup_id_x 1
		.amdhsa_system_sgpr_workgroup_id_y 1
		.amdhsa_system_sgpr_workgroup_id_z 0
		.amdhsa_system_sgpr_workgroup_info 0
		.amdhsa_system_vgpr_workitem_id 0
		.amdhsa_next_free_vgpr 19
		.amdhsa_next_free_sgpr 60
		.amdhsa_reserve_vcc 1
		.amdhsa_reserve_flat_scratch 0
		.amdhsa_float_round_mode_32 0
		.amdhsa_float_round_mode_16_64 0
		.amdhsa_float_denorm_mode_32 3
		.amdhsa_float_denorm_mode_16_64 3
		.amdhsa_dx10_clamp 1
		.amdhsa_ieee_mode 1
		.amdhsa_fp16_overflow 0
		.amdhsa_exception_fp_ieee_invalid_op 0
		.amdhsa_exception_fp_denorm_src 0
		.amdhsa_exception_fp_ieee_div_zero 0
		.amdhsa_exception_fp_ieee_overflow 0
		.amdhsa_exception_fp_ieee_underflow 0
		.amdhsa_exception_fp_ieee_inexact 0
		.amdhsa_exception_int_div_zero 0
	.end_amdhsa_kernel
	.section	.text._ZL12ssm_conv_f32ILb0ELm128ELm5EEvPKfS1_S1_iiiiPfiiil,"axG",@progbits,_ZL12ssm_conv_f32ILb0ELm128ELm5EEvPKfS1_S1_iiiiPfiiil,comdat
.Lfunc_end14:
	.size	_ZL12ssm_conv_f32ILb0ELm128ELm5EEvPKfS1_S1_iiiiPfiiil, .Lfunc_end14-_ZL12ssm_conv_f32ILb0ELm128ELm5EEvPKfS1_S1_iiiiPfiiil
                                        ; -- End function
	.set _ZL12ssm_conv_f32ILb0ELm128ELm5EEvPKfS1_S1_iiiiPfiiil.num_vgpr, 19
	.set _ZL12ssm_conv_f32ILb0ELm128ELm5EEvPKfS1_S1_iiiiPfiiil.num_agpr, 0
	.set _ZL12ssm_conv_f32ILb0ELm128ELm5EEvPKfS1_S1_iiiiPfiiil.numbered_sgpr, 60
	.set _ZL12ssm_conv_f32ILb0ELm128ELm5EEvPKfS1_S1_iiiiPfiiil.num_named_barrier, 0
	.set _ZL12ssm_conv_f32ILb0ELm128ELm5EEvPKfS1_S1_iiiiPfiiil.private_seg_size, 0
	.set _ZL12ssm_conv_f32ILb0ELm128ELm5EEvPKfS1_S1_iiiiPfiiil.uses_vcc, 1
	.set _ZL12ssm_conv_f32ILb0ELm128ELm5EEvPKfS1_S1_iiiiPfiiil.uses_flat_scratch, 0
	.set _ZL12ssm_conv_f32ILb0ELm128ELm5EEvPKfS1_S1_iiiiPfiiil.has_dyn_sized_stack, 0
	.set _ZL12ssm_conv_f32ILb0ELm128ELm5EEvPKfS1_S1_iiiiPfiiil.has_recursion, 0
	.set _ZL12ssm_conv_f32ILb0ELm128ELm5EEvPKfS1_S1_iiiiPfiiil.has_indirect_call, 0
	.section	.AMDGPU.csdata,"",@progbits
; Kernel info:
; codeLenInByte = 1624
; TotalNumSgprs: 64
; NumVgprs: 19
; ScratchSize: 0
; MemoryBound: 0
; FloatMode: 240
; IeeeMode: 1
; LDSByteSize: 0 bytes/workgroup (compile time only)
; SGPRBlocks: 7
; VGPRBlocks: 4
; NumSGPRsForWavesPerEU: 64
; NumVGPRsForWavesPerEU: 19
; Occupancy: 10
; WaveLimiterHint : 0
; COMPUTE_PGM_RSRC2:SCRATCH_EN: 0
; COMPUTE_PGM_RSRC2:USER_SGPR: 6
; COMPUTE_PGM_RSRC2:TRAP_HANDLER: 0
; COMPUTE_PGM_RSRC2:TGID_X_EN: 1
; COMPUTE_PGM_RSRC2:TGID_Y_EN: 1
; COMPUTE_PGM_RSRC2:TGID_Z_EN: 0
; COMPUTE_PGM_RSRC2:TIDIG_COMP_CNT: 0
	.section	.text._ZL23ssm_conv_long_token_f32ILb0ELm128ELm5ELl32EEvPKfS1_S1_iiiiPfiiil,"axG",@progbits,_ZL23ssm_conv_long_token_f32ILb0ELm128ELm5ELl32EEvPKfS1_S1_iiiiPfiiil,comdat
	.globl	_ZL23ssm_conv_long_token_f32ILb0ELm128ELm5ELl32EEvPKfS1_S1_iiiiPfiiil ; -- Begin function _ZL23ssm_conv_long_token_f32ILb0ELm128ELm5ELl32EEvPKfS1_S1_iiiiPfiiil
	.p2align	8
	.type	_ZL23ssm_conv_long_token_f32ILb0ELm128ELm5ELl32EEvPKfS1_S1_iiiiPfiiil,@function
_ZL23ssm_conv_long_token_f32ILb0ELm128ELm5ELl32EEvPKfS1_S1_iiiiPfiiil: ; @_ZL23ssm_conv_long_token_f32ILb0ELm128ELm5ELl32EEvPKfS1_S1_iiiiPfiiil
; %bb.0:
	s_load_dwordx2 s[12:13], s[4:5], 0x0
	s_load_dwordx4 s[0:3], s[4:5], 0x18
	s_mov_b32 s10, s7
	v_mul_u32_u24_e32 v1, 0x71d, v0
	v_lshrrev_b32_e32 v4, 16, v1
	v_mul_lo_u16_e32 v1, 36, v4
	s_waitcnt lgkmcnt(0)
	s_mul_i32 s2, s2, s6
	s_ashr_i32 s7, s2, 31
	s_add_u32 s2, s12, s2
	s_addc_u32 s7, s13, s7
	s_ashr_i32 s11, s10, 31
	s_lshl_b64 s[12:13], s[10:11], 7
	s_ashr_i32 s9, s1, 31
	s_mul_i32 s9, s12, s9
	s_mul_hi_u32 s14, s12, s1
	s_lshr_b64 s[10:11], s[10:11], 25
	s_add_i32 s9, s14, s9
	s_mul_i32 s10, s10, s1
	s_add_i32 s9, s9, s10
	s_mul_i32 s10, s12, s1
	s_add_u32 s2, s2, s10
	s_addc_u32 s7, s7, s9
	s_ashr_i32 s9, s8, 31
	s_lshl_b64 s[14:15], s[8:9], 5
	s_ashr_i32 s10, s0, 31
	s_mul_i32 s10, s14, s10
	s_mul_hi_u32 s11, s14, s0
	s_lshr_b64 s[8:9], s[8:9], 27
	s_add_i32 s10, s11, s10
	s_mul_i32 s8, s8, s0
	s_add_i32 s10, s10, s8
	s_mul_i32 s0, s14, s0
	s_add_u32 s2, s2, s0
	s_addc_u32 s7, s7, s10
	s_ashr_i32 s20, s1, 2
	v_sub_u16_e32 v1, v0, v1
	v_mad_u64_u32 v[2:3], s[0:1], s20, v4, v[1:2]
	v_mov_b32_e32 v5, s7
	s_movk_i32 s9, 0x90
	v_ashrrev_i32_e32 v3, 31, v2
	v_lshlrev_b64 v[2:3], 2, v[2:3]
	s_movk_i32 s8, 0x80
	v_add_co_u32_e32 v2, vcc, s2, v2
	v_addc_co_u32_e32 v3, vcc, v5, v3, vcc
	global_load_dword v2, v[2:3], off
	v_mul_u32_u24_e32 v3, 0x90, v4
	v_lshlrev_b32_e32 v5, 2, v1
	v_add3_u32 v3, 0, v3, v5
	v_or_b32_e32 v1, 0x80, v1
	v_mov_b32_e32 v5, s7
	s_waitcnt vmcnt(0)
	ds_write_b32 v3, v2
	v_mul_lo_u16_e32 v2, 57, v1
	v_lshrrev_b16_e32 v2, 11, v2
	v_add_u32_e32 v4, v4, v2
	v_mul_lo_u16_e32 v2, 36, v2
	v_sub_u16_e32 v1, v1, v2
	v_and_b32_e32 v1, 0xff, v1
	v_mad_u64_u32 v[2:3], s[0:1], v4, s20, v[1:2]
	v_ashrrev_i32_e32 v3, 31, v2
	v_lshlrev_b64 v[2:3], 2, v[2:3]
	v_add_co_u32_e32 v2, vcc, s2, v2
	v_addc_co_u32_e32 v3, vcc, v5, v3, vcc
	global_load_dword v2, v[2:3], off
	v_mul_u32_u24_e32 v3, 0x90, v4
	v_lshlrev_b32_e32 v5, 2, v1
	v_add3_u32 v3, 0, v3, v5
	v_or_b32_e32 v1, 0x80, v1
	v_mov_b32_e32 v5, s7
	s_waitcnt vmcnt(0)
	ds_write_b32 v3, v2
	v_mul_lo_u16_e32 v2, 57, v1
	v_lshrrev_b16_e32 v2, 11, v2
	v_add_u32_e32 v4, v4, v2
	v_mul_lo_u16_e32 v2, 36, v2
	v_sub_u16_e32 v1, v1, v2
	v_and_b32_e32 v1, 0xff, v1
	v_mad_u64_u32 v[2:3], s[0:1], v4, s20, v[1:2]
	v_ashrrev_i32_e32 v3, 31, v2
	v_lshlrev_b64 v[2:3], 2, v[2:3]
	;; [unrolled: 19-line block ×6, first 2 shown]
	v_add_co_u32_e32 v2, vcc, s2, v2
	v_addc_co_u32_e32 v3, vcc, v5, v3, vcc
	global_load_dword v2, v[2:3], off
	v_mul_lo_u32 v3, v4, s9
	v_lshlrev_b32_e32 v5, 2, v1
	v_or_b32_e32 v1, 0x80, v1
	v_add3_u32 v3, 0, v3, v5
	v_mov_b32_e32 v5, s7
	s_waitcnt vmcnt(0)
	ds_write_b32 v3, v2
	v_mul_lo_u16_e32 v2, 57, v1
	v_lshrrev_b16_e32 v2, 11, v2
	v_add_u32_e32 v4, v4, v2
	v_mul_lo_u16_e32 v2, 36, v2
	v_sub_u16_e32 v1, v1, v2
	v_and_b32_e32 v1, 0xff, v1
	v_mad_u64_u32 v[2:3], s[0:1], v4, s20, v[1:2]
	v_ashrrev_i32_e32 v3, 31, v2
	v_lshlrev_b64 v[2:3], 2, v[2:3]
	v_add_co_u32_e32 v2, vcc, s2, v2
	v_addc_co_u32_e32 v3, vcc, v5, v3, vcc
	global_load_dword v2, v[2:3], off
	v_mul_lo_u32 v3, v4, s9
	v_lshlrev_b32_e32 v5, 2, v1
	v_or_b32_e32 v1, 0x80, v1
	v_add3_u32 v3, 0, v3, v5
	v_mov_b32_e32 v5, s7
	s_waitcnt vmcnt(0)
	ds_write_b32 v3, v2
	v_mul_lo_u16_e32 v2, 57, v1
	v_lshrrev_b16_e32 v2, 11, v2
	v_add_u32_e32 v4, v4, v2
	v_mul_lo_u16_e32 v2, 36, v2
	v_sub_u16_e32 v1, v1, v2
	v_and_b32_e32 v1, 0xff, v1
	v_mad_u64_u32 v[2:3], s[0:1], v4, s20, v[1:2]
	v_ashrrev_i32_e32 v3, 31, v2
	v_lshlrev_b64 v[2:3], 2, v[2:3]
	;; [unrolled: 19-line block ×13, first 2 shown]
	v_add_co_u32_e32 v2, vcc, s2, v2
	v_addc_co_u32_e32 v3, vcc, v5, v3, vcc
	global_load_dword v2, v[2:3], off
	v_mul_lo_u32 v3, v4, s9
	v_lshlrev_b32_e32 v5, 2, v1
	v_or_b32_e32 v1, 0x80, v1
	v_add3_u32 v3, 0, v3, v5
	s_waitcnt vmcnt(0)
	ds_write_b32 v3, v2
	v_mul_lo_u16_e32 v2, 57, v1
	v_lshrrev_b16_e32 v3, 11, v2
	v_add_u32_e32 v2, v4, v3
	v_mul_lo_u16_e32 v3, 36, v3
	v_sub_u16_e32 v1, v1, v3
	v_and_b32_e32 v1, 0xff, v1
	v_cmp_gt_u32_e32 vcc, s8, v2
	s_and_saveexec_b64 s[0:1], vcc
	s_cbranch_execz .LBB15_2
; %bb.1:
	v_mad_u64_u32 v[3:4], s[10:11], v2, s20, v[1:2]
	v_mov_b32_e32 v5, s7
	v_ashrrev_i32_e32 v4, 31, v3
	v_lshlrev_b64 v[3:4], 2, v[3:4]
	v_add_co_u32_e32 v3, vcc, s2, v3
	v_addc_co_u32_e32 v4, vcc, v5, v4, vcc
	global_load_dword v3, v[3:4], off
	v_mul_lo_u32 v4, v2, s9
	v_lshlrev_b32_e32 v5, 2, v1
	v_add3_u32 v4, 0, v4, v5
	s_waitcnt vmcnt(0)
	ds_write_b32 v4, v3
.LBB15_2:
	s_or_b64 exec, exec, s[0:1]
	v_or_b32_e32 v1, 0x80, v1
	v_mul_lo_u16_e32 v3, 57, v1
	v_lshrrev_b16_e32 v3, 11, v3
	v_add_u32_e32 v2, v2, v3
	v_mul_lo_u16_e32 v3, 36, v3
	v_sub_u16_e32 v1, v1, v3
	v_and_b32_e32 v1, 0xff, v1
	v_cmp_gt_u32_e32 vcc, s8, v2
	s_and_saveexec_b64 s[0:1], vcc
	s_cbranch_execz .LBB15_4
; %bb.3:
	v_mad_u64_u32 v[3:4], s[8:9], v2, s20, v[1:2]
	v_mov_b32_e32 v5, s7
	s_movk_i32 s8, 0x90
	v_ashrrev_i32_e32 v4, 31, v3
	v_lshlrev_b64 v[3:4], 2, v[3:4]
	v_add_co_u32_e32 v3, vcc, s2, v3
	v_addc_co_u32_e32 v4, vcc, v5, v4, vcc
	global_load_dword v3, v[3:4], off
	v_mul_lo_u32 v4, v2, s8
	v_lshlrev_b32_e32 v5, 2, v1
	v_add3_u32 v4, 0, v4, v5
	s_waitcnt vmcnt(0)
	ds_write_b32 v4, v3
.LBB15_4:
	s_or_b64 exec, exec, s[0:1]
	v_or_b32_e32 v1, 0x80, v1
	v_mul_lo_u16_e32 v3, 57, v1
	v_lshrrev_b16_e32 v3, 11, v3
	v_add_u32_e32 v2, v2, v3
	v_mul_lo_u16_e32 v3, 36, v3
	s_movk_i32 s8, 0x80
	v_sub_u16_e32 v1, v1, v3
	v_and_b32_e32 v1, 0xff, v1
	v_cmp_gt_u32_e32 vcc, s8, v2
	s_and_saveexec_b64 s[0:1], vcc
	s_cbranch_execz .LBB15_6
; %bb.5:
	v_mad_u64_u32 v[3:4], s[10:11], v2, s20, v[1:2]
	v_mov_b32_e32 v5, s7
	s_movk_i32 s9, 0x90
	v_ashrrev_i32_e32 v4, 31, v3
	v_lshlrev_b64 v[3:4], 2, v[3:4]
	v_add_co_u32_e32 v3, vcc, s2, v3
	v_addc_co_u32_e32 v4, vcc, v5, v4, vcc
	global_load_dword v3, v[3:4], off
	v_mul_lo_u32 v4, v2, s9
	v_lshlrev_b32_e32 v5, 2, v1
	v_add3_u32 v4, 0, v4, v5
	s_waitcnt vmcnt(0)
	ds_write_b32 v4, v3
.LBB15_6:
	s_or_b64 exec, exec, s[0:1]
	v_or_b32_e32 v1, 0x80, v1
	v_mul_lo_u16_e32 v3, 57, v1
	v_lshrrev_b16_e32 v3, 11, v3
	v_add_u32_e32 v2, v2, v3
	v_mul_lo_u16_e32 v3, 36, v3
	v_sub_u16_e32 v1, v1, v3
	v_and_b32_e32 v1, 0xff, v1
	v_cmp_gt_u32_e32 vcc, s8, v2
	s_and_saveexec_b64 s[0:1], vcc
	s_cbranch_execz .LBB15_8
; %bb.7:
	v_mad_u64_u32 v[3:4], s[8:9], v2, s20, v[1:2]
	v_mov_b32_e32 v5, s7
	s_movk_i32 s8, 0x90
	v_ashrrev_i32_e32 v4, 31, v3
	v_lshlrev_b64 v[3:4], 2, v[3:4]
	v_add_co_u32_e32 v3, vcc, s2, v3
	v_addc_co_u32_e32 v4, vcc, v5, v4, vcc
	global_load_dword v3, v[3:4], off
	v_mul_lo_u32 v4, v2, s8
	v_lshlrev_b32_e32 v5, 2, v1
	v_add3_u32 v4, 0, v4, v5
	s_waitcnt vmcnt(0)
	ds_write_b32 v4, v3
.LBB15_8:
	s_or_b64 exec, exec, s[0:1]
	v_or_b32_e32 v1, 0x80, v1
	v_mul_lo_u16_e32 v3, 57, v1
	v_lshrrev_b16_e32 v3, 11, v3
	v_add_u32_e32 v2, v2, v3
	v_mul_lo_u16_e32 v3, 36, v3
	s_movk_i32 s8, 0x80
	v_sub_u16_e32 v1, v1, v3
	v_and_b32_e32 v1, 0xff, v1
	v_cmp_gt_u32_e32 vcc, s8, v2
	s_and_saveexec_b64 s[0:1], vcc
	s_cbranch_execz .LBB15_10
; %bb.9:
	v_mad_u64_u32 v[3:4], s[10:11], v2, s20, v[1:2]
	v_mov_b32_e32 v5, s7
	s_movk_i32 s9, 0x90
	v_ashrrev_i32_e32 v4, 31, v3
	v_lshlrev_b64 v[3:4], 2, v[3:4]
	v_add_co_u32_e32 v3, vcc, s2, v3
	v_addc_co_u32_e32 v4, vcc, v5, v4, vcc
	global_load_dword v3, v[3:4], off
	v_mul_lo_u32 v4, v2, s9
	v_lshlrev_b32_e32 v5, 2, v1
	v_add3_u32 v4, 0, v4, v5
	s_waitcnt vmcnt(0)
	ds_write_b32 v4, v3
.LBB15_10:
	;; [unrolled: 53-line block ×4, first 2 shown]
	s_or_b64 exec, exec, s[0:1]
	s_load_dwordx4 s[8:11], s[4:5], 0x8
	s_load_dwordx2 s[0:1], s[4:5], 0x28
	s_movk_i32 s16, 0x380
	v_cmp_gt_u32_e32 vcc, s16, v0
	s_and_saveexec_b64 s[16:17], vcc
	s_cbranch_execz .LBB15_39
; %bb.19:
	v_or_b32_e32 v1, 0x80, v1
	v_mul_lo_u16_e32 v3, 57, v1
	v_lshrrev_b16_e32 v3, 11, v3
	v_add_u32_e32 v2, v2, v3
	v_mul_lo_u16_e32 v3, 36, v3
	s_movk_i32 s18, 0x80
	v_sub_u16_e32 v1, v1, v3
	v_and_b32_e32 v1, 0xff, v1
	v_cmp_gt_u32_e32 vcc, s18, v2
	s_and_saveexec_b64 s[18:19], vcc
	s_cbranch_execz .LBB15_21
; %bb.20:
	v_mad_u64_u32 v[3:4], s[22:23], v2, s20, v[1:2]
	v_mov_b32_e32 v5, s7
	s_movk_i32 s21, 0x90
	v_ashrrev_i32_e32 v4, 31, v3
	v_lshlrev_b64 v[3:4], 2, v[3:4]
	v_add_co_u32_e32 v3, vcc, s2, v3
	v_addc_co_u32_e32 v4, vcc, v5, v4, vcc
	global_load_dword v3, v[3:4], off
	v_mul_lo_u32 v4, v2, s21
	v_lshlrev_b32_e32 v5, 2, v1
	v_add3_u32 v4, 0, v4, v5
	s_waitcnt vmcnt(0)
	ds_write_b32 v4, v3
.LBB15_21:
	s_or_b64 exec, exec, s[18:19]
	s_movk_i32 s18, 0x300
	v_cmp_gt_u32_e32 vcc, s18, v0
	s_and_b64 exec, exec, vcc
	s_cbranch_execz .LBB15_39
; %bb.22:
	v_or_b32_e32 v1, 0x80, v1
	v_mul_lo_u16_e32 v3, 57, v1
	v_lshrrev_b16_e32 v3, 11, v3
	v_add_u32_e32 v2, v2, v3
	v_mul_lo_u16_e32 v3, 36, v3
	s_movk_i32 s18, 0x80
	v_sub_u16_e32 v1, v1, v3
	v_and_b32_e32 v1, 0xff, v1
	v_cmp_gt_u32_e32 vcc, s18, v2
	s_and_saveexec_b64 s[18:19], vcc
	s_cbranch_execz .LBB15_24
; %bb.23:
	v_mad_u64_u32 v[3:4], s[22:23], v2, s20, v[1:2]
	v_mov_b32_e32 v5, s7
	s_movk_i32 s21, 0x90
	v_ashrrev_i32_e32 v4, 31, v3
	v_lshlrev_b64 v[3:4], 2, v[3:4]
	v_add_co_u32_e32 v3, vcc, s2, v3
	v_addc_co_u32_e32 v4, vcc, v5, v4, vcc
	global_load_dword v3, v[3:4], off
	v_mul_lo_u32 v4, v2, s21
	v_lshlrev_b32_e32 v5, 2, v1
	v_add3_u32 v4, 0, v4, v5
	s_waitcnt vmcnt(0)
	ds_write_b32 v4, v3
.LBB15_24:
	s_or_b64 exec, exec, s[18:19]
	s_movk_i32 s18, 0x280
	v_cmp_gt_u32_e32 vcc, s18, v0
	s_and_b64 exec, exec, vcc
	;; [unrolled: 32-line block ×5, first 2 shown]
	s_cbranch_execz .LBB15_39
; %bb.34:
	v_or_b32_e32 v1, 0x80, v1
	v_mul_lo_u16_e32 v3, 57, v1
	v_lshrrev_b16_e32 v3, 11, v3
	v_add_u32_e32 v2, v2, v3
	v_mul_lo_u16_e32 v3, 36, v3
	s_movk_i32 s21, 0x80
	v_sub_u16_e32 v1, v1, v3
	v_and_b32_e32 v1, 0xff, v1
	v_cmp_gt_u32_e32 vcc, s21, v2
	s_and_saveexec_b64 s[18:19], vcc
	s_cbranch_execz .LBB15_36
; %bb.35:
	v_mad_u64_u32 v[3:4], s[22:23], v2, s20, v[1:2]
	v_mov_b32_e32 v5, s7
	s_movk_i32 s22, 0x90
	v_ashrrev_i32_e32 v4, 31, v3
	v_lshlrev_b64 v[3:4], 2, v[3:4]
	v_add_co_u32_e32 v3, vcc, s2, v3
	v_addc_co_u32_e32 v4, vcc, v5, v4, vcc
	global_load_dword v3, v[3:4], off
	v_mul_lo_u32 v4, v2, s22
	v_lshlrev_b32_e32 v5, 2, v1
	v_add3_u32 v4, 0, v4, v5
	s_waitcnt vmcnt(0)
	ds_write_b32 v4, v3
.LBB15_36:
	s_or_b64 exec, exec, s[18:19]
	v_cmp_gt_u32_e32 vcc, s21, v0
	s_and_b64 exec, exec, vcc
	s_cbranch_execz .LBB15_39
; %bb.37:
	v_or_b32_e32 v3, 0x80, v1
	v_mul_lo_u16_e32 v1, 57, v3
	v_lshrrev_b16_e32 v4, 11, v1
	s_movk_i32 s18, 0x80
	v_add_u32_e32 v1, v2, v4
	v_cmp_gt_u32_e32 vcc, s18, v1
	s_and_b64 exec, exec, vcc
	s_cbranch_execz .LBB15_39
; %bb.38:
	v_mul_lo_u16_e32 v2, 36, v4
	v_sub_u16_e32 v2, v3, v2
	v_and_b32_e32 v2, 0xff, v2
	v_mad_u64_u32 v[3:4], s[18:19], v1, s20, v[2:3]
	v_mov_b32_e32 v5, s7
	v_lshlrev_b32_e32 v2, 2, v2
	v_ashrrev_i32_e32 v4, 31, v3
	v_lshlrev_b64 v[3:4], 2, v[3:4]
	v_add_co_u32_e32 v3, vcc, s2, v3
	v_addc_co_u32_e32 v4, vcc, v5, v4, vcc
	global_load_dword v3, v[3:4], off
	s_movk_i32 s2, 0x90
	v_mul_lo_u32 v1, v1, s2
	v_add3_u32 v1, 0, v1, v2
	s_waitcnt vmcnt(0)
	ds_write_b32 v1, v3
.LBB15_39:
	s_or_b64 exec, exec, s[16:17]
	s_ashr_i32 s2, s3, 31
	s_mul_hi_u32 s7, s12, s3
	s_mul_i32 s2, s12, s2
	s_add_i32 s2, s7, s2
	s_mul_i32 s7, s13, s3
	s_add_i32 s2, s2, s7
	s_mul_i32 s7, s12, s3
	s_waitcnt lgkmcnt(0)
	s_add_u32 s7, s8, s7
	s_addc_u32 s2, s9, s2
	s_ashr_i32 s3, s3, 2
	v_mul_lo_u32 v1, s3, v0
	v_mov_b32_e32 v3, s2
	s_barrier
	v_ashrrev_i32_e32 v2, 31, v1
	v_lshlrev_b64 v[1:2], 2, v[1:2]
	v_add_co_u32_e32 v5, vcc, s7, v1
	v_addc_co_u32_e32 v6, vcc, v3, v2, vcc
	global_load_dword v9, v[5:6], off offset:16
	global_load_dwordx4 v[1:4], v[5:6], off
	s_cmp_eq_u64 s[10:11], 0
	v_lshlrev_b32_e32 v5, 2, v0
	s_cbranch_scc1 .LBB15_41
; %bb.40:
	s_lshl_b64 s[2:3], s[12:13], 2
	s_add_u32 s2, s10, s2
	s_addc_u32 s3, s11, s3
	global_load_dword v10, v5, s[2:3]
	s_branch .LBB15_42
.LBB15_41:
	v_mov_b32_e32 v10, 0
.LBB15_42:
	s_load_dwordx2 s[2:3], s[4:5], 0x40
	s_waitcnt lgkmcnt(0)
	s_sub_u32 s2, s2, s14
	s_subb_u32 s3, s3, s15
	v_cmp_lt_i64_e64 s[8:9], s[2:3], 1
	s_and_b64 vcc, exec, s[8:9]
	s_cbranch_vccnz .LBB15_45
; %bb.43:
	s_load_dwordx4 s[8:11], s[4:5], 0x30
	s_waitcnt lgkmcnt(0)
	s_mul_i32 s4, s10, s6
	s_ashr_i32 s10, s4, 31
	s_add_u32 s0, s0, s4
	s_addc_u32 s1, s1, s10
	s_ashr_i32 s4, s9, 31
	s_mul_hi_u32 s5, s14, s9
	s_mul_i32 s4, s14, s4
	s_mul_i32 s6, s15, s9
	s_add_i32 s4, s5, s4
	s_mul_i32 s7, s14, s9
	s_add_i32 s4, s4, s6
	s_add_u32 s0, s0, s7
	s_addc_u32 s1, s1, s4
	s_ashr_i32 s4, s8, 31
	s_mul_hi_u32 s5, s12, s8
	s_mul_i32 s4, s12, s4
	s_add_i32 s4, s5, s4
	s_mul_i32 s5, s13, s8
	s_add_i32 s4, s4, s5
	s_mul_i32 s5, s12, s8
	s_add_u32 s6, s0, s5
	s_addc_u32 s0, s1, s4
	s_movk_i32 s1, 0x90
	v_mad_u32_u24 v0, v0, s1, 0
	s_ashr_i32 s4, s9, 2
	v_mov_b32_e32 v6, s0
	v_cmp_lt_u64_e64 s[0:1], s[2:3], 32
	ds_read_b32 v7, v0
	s_ashr_i32 s5, s4, 31
	s_and_b64 s[0:1], s[0:1], exec
	v_add_co_u32_e32 v5, vcc, s6, v5
	s_cselect_b32 s1, s3, 0
	s_cselect_b32 s0, s2, 32
	s_lshl_b64 s[2:3], s[4:5], 2
	v_addc_co_u32_e32 v6, vcc, 0, v6, vcc
	v_mov_b32_e32 v11, s3
	s_waitcnt vmcnt(0)
.LBB15_44:                              ; =>This Inner Loop Header: Depth=1
	s_waitcnt lgkmcnt(0)
	v_fma_f32 v14, v1, v7, 0
	ds_read2_b32 v[7:8], v0 offset0:1 offset1:2
	ds_read2_b32 v[12:13], v0 offset0:3 offset1:4
	s_add_u32 s0, s0, -1
	v_add_u32_e32 v15, 4, v0
	s_addc_u32 s1, s1, -1
	s_waitcnt lgkmcnt(1)
	v_fmac_f32_e32 v14, v2, v7
	v_fmac_f32_e32 v14, v3, v8
	s_waitcnt lgkmcnt(0)
	v_fmac_f32_e32 v14, v4, v12
	v_fmac_f32_e32 v14, v9, v13
	v_add_f32_e32 v8, v10, v14
	global_store_dword v[5:6], v8, off
	v_add_co_u32_e32 v5, vcc, s2, v5
	v_mov_b32_e32 v0, v15
	s_cmp_lg_u64 s[0:1], 0
	v_addc_co_u32_e32 v6, vcc, v6, v11, vcc
	s_cbranch_scc1 .LBB15_44
.LBB15_45:
	s_endpgm
	.section	.rodata,"a",@progbits
	.p2align	6, 0x0
	.amdhsa_kernel _ZL23ssm_conv_long_token_f32ILb0ELm128ELm5ELl32EEvPKfS1_S1_iiiiPfiiil
		.amdhsa_group_segment_fixed_size 0
		.amdhsa_private_segment_fixed_size 0
		.amdhsa_kernarg_size 72
		.amdhsa_user_sgpr_count 6
		.amdhsa_user_sgpr_private_segment_buffer 1
		.amdhsa_user_sgpr_dispatch_ptr 0
		.amdhsa_user_sgpr_queue_ptr 0
		.amdhsa_user_sgpr_kernarg_segment_ptr 1
		.amdhsa_user_sgpr_dispatch_id 0
		.amdhsa_user_sgpr_flat_scratch_init 0
		.amdhsa_user_sgpr_private_segment_size 0
		.amdhsa_uses_dynamic_stack 0
		.amdhsa_system_sgpr_private_segment_wavefront_offset 0
		.amdhsa_system_sgpr_workgroup_id_x 1
		.amdhsa_system_sgpr_workgroup_id_y 1
		.amdhsa_system_sgpr_workgroup_id_z 1
		.amdhsa_system_sgpr_workgroup_info 0
		.amdhsa_system_vgpr_workitem_id 0
		.amdhsa_next_free_vgpr 16
		.amdhsa_next_free_sgpr 24
		.amdhsa_reserve_vcc 1
		.amdhsa_reserve_flat_scratch 0
		.amdhsa_float_round_mode_32 0
		.amdhsa_float_round_mode_16_64 0
		.amdhsa_float_denorm_mode_32 3
		.amdhsa_float_denorm_mode_16_64 3
		.amdhsa_dx10_clamp 1
		.amdhsa_ieee_mode 1
		.amdhsa_fp16_overflow 0
		.amdhsa_exception_fp_ieee_invalid_op 0
		.amdhsa_exception_fp_denorm_src 0
		.amdhsa_exception_fp_ieee_div_zero 0
		.amdhsa_exception_fp_ieee_overflow 0
		.amdhsa_exception_fp_ieee_underflow 0
		.amdhsa_exception_fp_ieee_inexact 0
		.amdhsa_exception_int_div_zero 0
	.end_amdhsa_kernel
	.section	.text._ZL23ssm_conv_long_token_f32ILb0ELm128ELm5ELl32EEvPKfS1_S1_iiiiPfiiil,"axG",@progbits,_ZL23ssm_conv_long_token_f32ILb0ELm128ELm5ELl32EEvPKfS1_S1_iiiiPfiiil,comdat
.Lfunc_end15:
	.size	_ZL23ssm_conv_long_token_f32ILb0ELm128ELm5ELl32EEvPKfS1_S1_iiiiPfiiil, .Lfunc_end15-_ZL23ssm_conv_long_token_f32ILb0ELm128ELm5ELl32EEvPKfS1_S1_iiiiPfiiil
                                        ; -- End function
	.set _ZL23ssm_conv_long_token_f32ILb0ELm128ELm5ELl32EEvPKfS1_S1_iiiiPfiiil.num_vgpr, 16
	.set _ZL23ssm_conv_long_token_f32ILb0ELm128ELm5ELl32EEvPKfS1_S1_iiiiPfiiil.num_agpr, 0
	.set _ZL23ssm_conv_long_token_f32ILb0ELm128ELm5ELl32EEvPKfS1_S1_iiiiPfiiil.numbered_sgpr, 24
	.set _ZL23ssm_conv_long_token_f32ILb0ELm128ELm5ELl32EEvPKfS1_S1_iiiiPfiiil.num_named_barrier, 0
	.set _ZL23ssm_conv_long_token_f32ILb0ELm128ELm5ELl32EEvPKfS1_S1_iiiiPfiiil.private_seg_size, 0
	.set _ZL23ssm_conv_long_token_f32ILb0ELm128ELm5ELl32EEvPKfS1_S1_iiiiPfiiil.uses_vcc, 1
	.set _ZL23ssm_conv_long_token_f32ILb0ELm128ELm5ELl32EEvPKfS1_S1_iiiiPfiiil.uses_flat_scratch, 0
	.set _ZL23ssm_conv_long_token_f32ILb0ELm128ELm5ELl32EEvPKfS1_S1_iiiiPfiiil.has_dyn_sized_stack, 0
	.set _ZL23ssm_conv_long_token_f32ILb0ELm128ELm5ELl32EEvPKfS1_S1_iiiiPfiiil.has_recursion, 0
	.set _ZL23ssm_conv_long_token_f32ILb0ELm128ELm5ELl32EEvPKfS1_S1_iiiiPfiiil.has_indirect_call, 0
	.section	.AMDGPU.csdata,"",@progbits
; Kernel info:
; codeLenInByte = 4948
; TotalNumSgprs: 28
; NumVgprs: 16
; ScratchSize: 0
; MemoryBound: 0
; FloatMode: 240
; IeeeMode: 1
; LDSByteSize: 0 bytes/workgroup (compile time only)
; SGPRBlocks: 3
; VGPRBlocks: 3
; NumSGPRsForWavesPerEU: 28
; NumVGPRsForWavesPerEU: 16
; Occupancy: 10
; WaveLimiterHint : 0
; COMPUTE_PGM_RSRC2:SCRATCH_EN: 0
; COMPUTE_PGM_RSRC2:USER_SGPR: 6
; COMPUTE_PGM_RSRC2:TRAP_HANDLER: 0
; COMPUTE_PGM_RSRC2:TGID_X_EN: 1
; COMPUTE_PGM_RSRC2:TGID_Y_EN: 1
; COMPUTE_PGM_RSRC2:TGID_Z_EN: 1
; COMPUTE_PGM_RSRC2:TIDIG_COMP_CNT: 0
	.section	.text._ZL12ssm_conv_f32ILb0ELm128ELm9EEvPKfS1_S1_iiiiPfiiil,"axG",@progbits,_ZL12ssm_conv_f32ILb0ELm128ELm9EEvPKfS1_S1_iiiiPfiiil,comdat
	.globl	_ZL12ssm_conv_f32ILb0ELm128ELm9EEvPKfS1_S1_iiiiPfiiil ; -- Begin function _ZL12ssm_conv_f32ILb0ELm128ELm9EEvPKfS1_S1_iiiiPfiiil
	.p2align	8
	.type	_ZL12ssm_conv_f32ILb0ELm128ELm9EEvPKfS1_S1_iiiiPfiiil,@function
_ZL12ssm_conv_f32ILb0ELm128ELm9EEvPKfS1_S1_iiiiPfiiil: ; @_ZL12ssm_conv_f32ILb0ELm128ELm9EEvPKfS1_S1_iiiiPfiiil
; %bb.0:
	s_load_dwordx4 s[8:11], s[4:5], 0x1c
	s_load_dwordx4 s[0:3], s[4:5], 0x0
	s_load_dwordx2 s[12:13], s[4:5], 0x10
	s_mov_b32 s14, s7
	s_ashr_i32 s15, s7, 31
	s_lshl_b64 s[16:17], s[14:15], 7
	s_waitcnt lgkmcnt(0)
	s_ashr_i32 s7, s10, 31
	s_mul_i32 s7, s16, s7
	s_mul_hi_u32 s11, s16, s10
	s_lshr_b64 s[14:15], s[14:15], 25
	s_add_i32 s7, s11, s7
	s_mul_i32 s11, s14, s10
	s_add_i32 s7, s7, s11
	s_mul_i32 s11, s16, s10
	s_add_u32 s19, s2, s11
	s_addc_u32 s7, s3, s7
	s_cmp_eq_u64 s[12:13], 0
	v_lshlrev_b32_e32 v19, 2, v0
	s_cbranch_scc1 .LBB16_2
; %bb.1:
	s_lshl_b64 s[2:3], s[16:17], 2
	s_add_u32 s2, s12, s2
	s_addc_u32 s3, s13, s3
	global_load_dword v21, v19, s[2:3]
	s_load_dwordx2 s[2:3], s[4:5], 0x40
	s_waitcnt lgkmcnt(0)
	v_cmp_lt_i64_e64 s[12:13], s[2:3], 1
	s_and_b64 vcc, exec, s[12:13]
	s_cbranch_vccz .LBB16_3
	s_branch .LBB16_6
.LBB16_2:
	v_mov_b32_e32 v21, 0
	s_load_dwordx2 s[2:3], s[4:5], 0x40
	s_waitcnt lgkmcnt(0)
	v_cmp_lt_i64_e64 s[12:13], s[2:3], 1
	s_and_b64 vcc, exec, s[12:13]
	s_cbranch_vccnz .LBB16_6
.LBB16_3:
	s_ashr_i32 s10, s10, 2
	v_mul_lo_u32 v1, s10, v0
	s_load_dwordx2 s[10:11], s[4:5], 0x28
	s_load_dwordx4 s[12:15], s[4:5], 0x30
	s_ashr_i32 s4, s8, 31
	s_mul_hi_u32 s5, s16, s8
	s_mul_i32 s4, s16, s4
	s_add_i32 s4, s5, s4
	s_mul_i32 s5, s17, s8
	v_mov_b32_e32 v3, s7
	s_mul_i32 s7, s9, s6
	s_waitcnt lgkmcnt(0)
	s_add_i32 s15, s4, s5
	s_mul_i32 s4, s14, s6
	s_ashr_i32 s9, s7, 31
	s_ashr_i32 s5, s4, 31
	s_add_u32 s14, s10, s4
	s_addc_u32 s20, s11, s5
	s_ashr_i32 s6, s12, 31
	s_mul_hi_u32 s21, s16, s12
	s_mul_i32 s6, s16, s6
	s_add_i32 s6, s21, s6
	s_mul_i32 s17, s17, s12
	s_add_i32 s6, s6, s17
	s_mul_i32 s12, s16, s12
	s_mul_i32 s18, s16, s8
	s_add_u32 s16, s14, s12
	s_addc_u32 s17, s20, s6
	s_add_u32 s14, s0, s7
	s_addc_u32 s20, s1, s9
	;; [unrolled: 2-line block ×3, first 2 shown]
	s_ashr_i32 s8, s8, 2
	v_ashrrev_i32_e32 v2, 31, v1
	v_mul_lo_u32 v0, s8, v0
	v_lshlrev_b64 v[1:2], 2, v[1:2]
	s_cmp_eq_u64 s[2:3], 1
	v_add_co_u32_e32 v23, vcc, s19, v1
	v_addc_co_u32_e32 v24, vcc, v3, v2, vcc
	v_ashrrev_i32_e32 v1, 31, v0
	global_load_dwordx4 v[9:12], v[23:24], off
	v_lshlrev_b64 v[17:18], 2, v[0:1]
	v_mov_b32_e32 v0, s20
	v_add_co_u32_e32 v25, vcc, s14, v17
	v_addc_co_u32_e32 v26, vcc, v0, v18, vcc
	global_load_dwordx4 v[0:3], v[25:26], off
	global_load_dword v22, v[23:24], off offset:32
	global_load_dwordx4 v[13:16], v[23:24], off offset:16
	global_load_dwordx4 v[4:7], v[25:26], off offset:16
	global_load_dword v8, v[25:26], off offset:32
	s_waitcnt vmcnt(4)
	v_fma_f32 v20, v0, v9, 0
	v_fmac_f32_e32 v20, v1, v10
	v_fmac_f32_e32 v20, v2, v11
	;; [unrolled: 1-line block ×3, first 2 shown]
	s_waitcnt vmcnt(1)
	v_fmac_f32_e32 v20, v4, v13
	v_fmac_f32_e32 v20, v5, v14
	;; [unrolled: 1-line block ×4, first 2 shown]
	s_waitcnt vmcnt(0)
	v_fmac_f32_e32 v20, v8, v22
	v_add_f32_e32 v20, v21, v20
	global_store_dword v19, v20, s[16:17]
	s_cbranch_scc1 .LBB16_6
; %bb.4:
	s_ashr_i32 s16, s13, 2
	s_ashr_i32 s17, s16, 31
	s_add_u32 s2, s2, -1
	s_addc_u32 s3, s3, -1
	s_add_u32 s0, s0, s7
	s_addc_u32 s1, s1, s9
	s_add_u32 s0, s0, s18
	s_addc_u32 s1, s1, s15
	v_mov_b32_e32 v20, s1
	v_add_co_u32_e32 v17, vcc, s0, v17
	s_lshl_b64 s[0:1], s[16:17], 2
	s_add_u32 s7, s12, s0
	s_addc_u32 s6, s6, s1
	s_add_u32 s4, s10, s4
	v_addc_co_u32_e32 v18, vcc, v20, v18, vcc
	s_addc_u32 s5, s11, s5
	v_add_co_u32_e32 v17, vcc, 36, v17
	s_add_u32 s4, s4, s7
	v_addc_co_u32_e32 v18, vcc, 0, v18, vcc
	s_addc_u32 s5, s5, s6
	v_mov_b32_e32 v20, s5
	v_add_co_u32_e32 v19, vcc, s4, v19
	v_addc_co_u32_e32 v20, vcc, 0, v20, vcc
	s_mov_b64 s[4:5], 1
	s_mov_b64 s[6:7], 0
	;; [unrolled: 1-line block ×10, first 2 shown]
.LBB16_5:                               ; =>This Inner Loop Header: Depth=1
	s_mul_i32 s27, s5, 0x8e38e38f
	s_mul_hi_u32 s28, s4, 0x8e38e38f
	s_mul_hi_u32 s26, s5, 0x8e38e38f
	s_add_u32 s27, s27, s28
	s_mul_i32 s25, s4, 0xe38e38e3
	s_addc_u32 s26, s26, 0
	s_mul_hi_u32 s24, s4, 0xe38e38e3
	s_add_u32 s25, s25, s27
	s_addc_u32 s24, s24, 0
	s_add_u32 s24, s26, s24
	s_mul_i32 s45, s5, 0xe38e38e3
	s_addc_u32 s25, 0, 0
	s_mul_hi_u32 s29, s5, 0xe38e38e3
	s_add_u32 s24, s45, s24
	s_addc_u32 s25, s29, s25
	s_mul_i32 s48, s9, 0x8e38e38f
	s_mul_hi_u32 s51, s8, 0x8e38e38f
	s_lshr_b64 s[28:29], s[24:25], 3
	s_mul_hi_u32 s50, s9, 0x8e38e38f
	s_add_u32 s24, s48, s51
	s_mul_i32 s47, s8, 0xe38e38e3
	s_addc_u32 s25, s50, 0
	s_mul_hi_u32 s49, s8, 0xe38e38e3
	s_add_u32 s24, s47, s24
	s_addc_u32 s24, s49, 0
	s_add_u32 s24, s25, s24
	global_load_dword v23, v[17:18], off
	s_mul_i32 s53, s9, 0xe38e38e3
	s_addc_u32 s25, 0, 0
	s_mul_hi_u32 s52, s9, 0xe38e38e3
	s_add_u32 s24, s53, s24
	s_addc_u32 s25, s52, s25
	s_mul_i32 s57, s11, 0x8e38e38f
	s_mul_hi_u32 s58, s10, 0x8e38e38f
	s_lshr_b64 s[24:25], s[24:25], 3
	s_mul_hi_u32 s56, s11, 0x8e38e38f
	s_add_u32 s25, s57, s58
	s_mul_i32 s55, s10, 0xe38e38e3
	s_addc_u32 s26, s56, 0
	s_mul_hi_u32 s54, s10, 0xe38e38e3
	s_add_u32 s25, s55, s25
	s_addc_u32 s27, s54, 0
	s_add_u32 s26, s26, s27
	s_mul_i32 s60, s11, 0xe38e38e3
	s_addc_u32 s27, 0, 0
	s_mul_hi_u32 s59, s11, 0xe38e38e3
	s_add_u32 s26, s60, s26
	s_addc_u32 s27, s59, s27
	s_mul_i32 s63, s13, 0x8e38e38f
	s_mul_hi_u32 s64, s12, 0x8e38e38f
	s_lshr_b64 s[26:27], s[26:27], 3
	s_mul_hi_u32 s62, s13, 0x8e38e38f
	s_add_u32 s27, s63, s64
	s_mul_i32 s61, s12, 0xe38e38e3
	s_addc_u32 s56, s62, 0
	s_mul_hi_u32 s30, s12, 0xe38e38e3
	s_add_u32 s27, s61, s27
	s_addc_u32 s30, s30, 0
	s_add_u32 s30, s56, s30
	;; [unrolled: 16-line block ×4, first 2 shown]
	s_mul_i32 s48, s17, 0xe38e38e3
	s_addc_u32 s37, 0, 0
	s_mul_hi_u32 s45, s17, 0xe38e38e3
	s_add_u32 s36, s48, s36
	s_addc_u32 s37, s45, s37
	s_mul_i32 s50, s19, 0x8e38e38f
	s_mul_hi_u32 s51, s18, 0x8e38e38f
	s_lshr_b64 s[36:37], s[36:37], 3
	s_mul_hi_u32 s49, s19, 0x8e38e38f
	s_add_u32 s37, s50, s51
	s_mul_i32 s47, s18, 0xe38e38e3
	s_addc_u32 s38, s49, 0
	s_mul_hi_u32 s29, s18, 0xe38e38e3
	s_add_u32 s37, s47, s37
	s_mul_i32 s48, s28, 9
	s_addc_u32 s28, s29, 0
	s_add_u32 s28, s38, s28
	s_mul_i32 s52, s19, 0xe38e38e3
	s_addc_u32 s29, 0, 0
	s_mul_hi_u32 s25, s19, 0xe38e38e3
	s_add_u32 s28, s52, s28
	s_addc_u32 s29, s25, s29
	s_mul_i32 s27, s21, 0x8e38e38f
	s_mul_hi_u32 s57, s20, 0x8e38e38f
	s_lshr_b64 s[28:29], s[28:29], 3
	s_mul_hi_u32 s55, s21, 0x8e38e38f
	s_add_u32 s25, s27, s57
	s_mul_i32 s54, s20, 0xe38e38e3
	s_addc_u32 s27, s55, 0
	s_mul_hi_u32 s53, s20, 0xe38e38e3
	s_add_u32 s25, s54, s25
	s_addc_u32 s25, s53, 0
	s_add_u32 s25, s27, s25
	s_mul_i32 s58, s21, 0xe38e38e3
	s_addc_u32 s27, 0, 0
	s_mul_hi_u32 s56, s21, 0xe38e38e3
	s_add_u32 s38, s58, s25
	s_addc_u32 s39, s56, s27
	s_mul_i32 s33, s23, 0x8e38e38f
	s_mul_hi_u32 s40, s22, 0x8e38e38f
	s_lshr_b64 s[38:39], s[38:39], 3
	s_mul_hi_u32 s59, s23, 0x8e38e38f
	s_add_u32 s25, s33, s40
	s_mul_i32 s31, s22, 0xe38e38e3
	s_addc_u32 s27, s59, 0
	s_mul_hi_u32 s41, s22, 0xe38e38e3
	s_add_u32 s25, s31, s25
	;; [unrolled: 16-line block ×3, first 2 shown]
	s_addc_u32 s25, s42, 0
	s_add_u32 s25, s29, s25
	s_mul_i32 s49, s7, 0xe38e38e3
	s_addc_u32 s29, 0, 0
	s_mul_hi_u32 s47, s7, 0xe38e38e3
	s_mul_i32 s27, s40, 9
	s_add_u32 s40, s49, s25
	s_addc_u32 s41, s47, s29
	s_lshr_b64 s[40:41], s[40:41], 3
	s_sub_i32 s25, s6, s48
	s_mul_i32 s29, s40, -9
	s_add_i32 s25, s25, 1
	s_add_i32 s29, s6, s29
	s_waitcnt vmcnt(0)
	s_set_gpr_idx_on s29, gpr_idx(DST)
	v_mov_b32_e32 v0, v23
	s_set_gpr_idx_off
	s_add_u32 s4, s4, 1
	s_addc_u32 s5, s5, 0
	s_sub_i32 s27, s6, s27
	s_set_gpr_idx_on s25, gpr_idx(SRC0)
	v_mov_b32_e32 v23, v0
	s_set_gpr_idx_off
	s_mul_i32 s25, s38, 9
	s_add_i32 s27, s27, 2
	s_sub_i32 s25, s6, s25
	v_fma_f32 v23, v23, v9, 0
	s_set_gpr_idx_on s27, gpr_idx(SRC0)
	v_mov_b32_e32 v24, v0
	s_set_gpr_idx_off
	s_add_i32 s25, s25, 3
	v_fmac_f32_e32 v23, v24, v10
	s_set_gpr_idx_on s25, gpr_idx(SRC0)
	v_mov_b32_e32 v24, v0
	s_set_gpr_idx_off
	s_mul_i32 s25, s28, 9
	s_sub_i32 s25, s6, s25
	s_add_i32 s25, s25, 4
	v_fmac_f32_e32 v23, v24, v11
	s_set_gpr_idx_on s25, gpr_idx(SRC0)
	v_mov_b32_e32 v24, v0
	s_set_gpr_idx_off
	s_mul_i32 s25, s36, 9
	s_sub_i32 s25, s6, s25
	s_add_i32 s25, s25, 5
	v_fmac_f32_e32 v23, v24, v12
	s_set_gpr_idx_on s25, gpr_idx(SRC0)
	v_mov_b32_e32 v24, v0
	s_set_gpr_idx_off
	s_mul_i32 s25, s34, 9
	s_sub_i32 s25, s6, s25
	s_add_i32 s25, s25, 6
	v_fmac_f32_e32 v23, v24, v13
	s_set_gpr_idx_on s25, gpr_idx(SRC0)
	v_mov_b32_e32 v24, v0
	s_set_gpr_idx_off
	s_mul_i32 s25, s30, 9
	s_sub_i32 s25, s6, s25
	s_add_i32 s25, s25, 7
	v_fmac_f32_e32 v23, v24, v14
	s_set_gpr_idx_on s25, gpr_idx(SRC0)
	v_mov_b32_e32 v24, v0
	s_set_gpr_idx_off
	s_mul_i32 s25, s26, 9
	s_mul_i32 s24, s24, 9
	s_sub_i32 s25, s6, s25
	s_sub_i32 s24, s6, s24
	s_add_i32 s25, s25, 8
	s_add_i32 s24, s24, 9
	s_add_u32 s6, s6, 1
	s_addc_u32 s7, s7, 0
	s_add_u32 s8, s8, 1
	s_addc_u32 s9, s9, 0
	;; [unrolled: 2-line block ×6, first 2 shown]
	s_add_u32 s18, s18, 1
	v_fmac_f32_e32 v23, v24, v15
	s_set_gpr_idx_on s25, gpr_idx(SRC0)
	v_mov_b32_e32 v24, v0
	s_set_gpr_idx_off
	s_addc_u32 s19, s19, 0
	v_fmac_f32_e32 v23, v24, v16
	s_set_gpr_idx_on s24, gpr_idx(SRC0)
	v_mov_b32_e32 v24, v0
	s_set_gpr_idx_off
	s_add_u32 s20, s20, 1
	v_fmac_f32_e32 v23, v24, v22
	v_add_co_u32_e32 v17, vcc, 4, v17
	s_addc_u32 s21, s21, 0
	v_add_f32_e32 v23, v21, v23
	v_addc_co_u32_e32 v18, vcc, 0, v18, vcc
	s_add_u32 s22, s22, 1
	global_store_dword v[19:20], v23, off
	v_mov_b32_e32 v23, s1
	v_add_co_u32_e32 v19, vcc, s0, v19
	s_addc_u32 s23, s23, 0
	s_cmp_eq_u64 s[2:3], s[6:7]
	v_addc_co_u32_e32 v20, vcc, v20, v23, vcc
	s_cbranch_scc0 .LBB16_5
.LBB16_6:
	s_endpgm
	.section	.rodata,"a",@progbits
	.p2align	6, 0x0
	.amdhsa_kernel _ZL12ssm_conv_f32ILb0ELm128ELm9EEvPKfS1_S1_iiiiPfiiil
		.amdhsa_group_segment_fixed_size 0
		.amdhsa_private_segment_fixed_size 0
		.amdhsa_kernarg_size 72
		.amdhsa_user_sgpr_count 6
		.amdhsa_user_sgpr_private_segment_buffer 1
		.amdhsa_user_sgpr_dispatch_ptr 0
		.amdhsa_user_sgpr_queue_ptr 0
		.amdhsa_user_sgpr_kernarg_segment_ptr 1
		.amdhsa_user_sgpr_dispatch_id 0
		.amdhsa_user_sgpr_flat_scratch_init 0
		.amdhsa_user_sgpr_private_segment_size 0
		.amdhsa_uses_dynamic_stack 0
		.amdhsa_system_sgpr_private_segment_wavefront_offset 0
		.amdhsa_system_sgpr_workgroup_id_x 1
		.amdhsa_system_sgpr_workgroup_id_y 1
		.amdhsa_system_sgpr_workgroup_id_z 0
		.amdhsa_system_sgpr_workgroup_info 0
		.amdhsa_system_vgpr_workitem_id 0
		.amdhsa_next_free_vgpr 27
		.amdhsa_next_free_sgpr 65
		.amdhsa_reserve_vcc 1
		.amdhsa_reserve_flat_scratch 0
		.amdhsa_float_round_mode_32 0
		.amdhsa_float_round_mode_16_64 0
		.amdhsa_float_denorm_mode_32 3
		.amdhsa_float_denorm_mode_16_64 3
		.amdhsa_dx10_clamp 1
		.amdhsa_ieee_mode 1
		.amdhsa_fp16_overflow 0
		.amdhsa_exception_fp_ieee_invalid_op 0
		.amdhsa_exception_fp_denorm_src 0
		.amdhsa_exception_fp_ieee_div_zero 0
		.amdhsa_exception_fp_ieee_overflow 0
		.amdhsa_exception_fp_ieee_underflow 0
		.amdhsa_exception_fp_ieee_inexact 0
		.amdhsa_exception_int_div_zero 0
	.end_amdhsa_kernel
	.section	.text._ZL12ssm_conv_f32ILb0ELm128ELm9EEvPKfS1_S1_iiiiPfiiil,"axG",@progbits,_ZL12ssm_conv_f32ILb0ELm128ELm9EEvPKfS1_S1_iiiiPfiiil,comdat
.Lfunc_end16:
	.size	_ZL12ssm_conv_f32ILb0ELm128ELm9EEvPKfS1_S1_iiiiPfiiil, .Lfunc_end16-_ZL12ssm_conv_f32ILb0ELm128ELm9EEvPKfS1_S1_iiiiPfiiil
                                        ; -- End function
	.set _ZL12ssm_conv_f32ILb0ELm128ELm9EEvPKfS1_S1_iiiiPfiiil.num_vgpr, 27
	.set _ZL12ssm_conv_f32ILb0ELm128ELm9EEvPKfS1_S1_iiiiPfiiil.num_agpr, 0
	.set _ZL12ssm_conv_f32ILb0ELm128ELm9EEvPKfS1_S1_iiiiPfiiil.numbered_sgpr, 65
	.set _ZL12ssm_conv_f32ILb0ELm128ELm9EEvPKfS1_S1_iiiiPfiiil.num_named_barrier, 0
	.set _ZL12ssm_conv_f32ILb0ELm128ELm9EEvPKfS1_S1_iiiiPfiiil.private_seg_size, 0
	.set _ZL12ssm_conv_f32ILb0ELm128ELm9EEvPKfS1_S1_iiiiPfiiil.uses_vcc, 1
	.set _ZL12ssm_conv_f32ILb0ELm128ELm9EEvPKfS1_S1_iiiiPfiiil.uses_flat_scratch, 0
	.set _ZL12ssm_conv_f32ILb0ELm128ELm9EEvPKfS1_S1_iiiiPfiiil.has_dyn_sized_stack, 0
	.set _ZL12ssm_conv_f32ILb0ELm128ELm9EEvPKfS1_S1_iiiiPfiiil.has_recursion, 0
	.set _ZL12ssm_conv_f32ILb0ELm128ELm9EEvPKfS1_S1_iiiiPfiiil.has_indirect_call, 0
	.section	.AMDGPU.csdata,"",@progbits
; Kernel info:
; codeLenInByte = 1956
; TotalNumSgprs: 69
; NumVgprs: 27
; ScratchSize: 0
; MemoryBound: 0
; FloatMode: 240
; IeeeMode: 1
; LDSByteSize: 0 bytes/workgroup (compile time only)
; SGPRBlocks: 8
; VGPRBlocks: 6
; NumSGPRsForWavesPerEU: 69
; NumVGPRsForWavesPerEU: 27
; Occupancy: 9
; WaveLimiterHint : 0
; COMPUTE_PGM_RSRC2:SCRATCH_EN: 0
; COMPUTE_PGM_RSRC2:USER_SGPR: 6
; COMPUTE_PGM_RSRC2:TRAP_HANDLER: 0
; COMPUTE_PGM_RSRC2:TGID_X_EN: 1
; COMPUTE_PGM_RSRC2:TGID_Y_EN: 1
; COMPUTE_PGM_RSRC2:TGID_Z_EN: 0
; COMPUTE_PGM_RSRC2:TIDIG_COMP_CNT: 0
	.section	.text._ZL23ssm_conv_long_token_f32ILb0ELm128ELm9ELl32EEvPKfS1_S1_iiiiPfiiil,"axG",@progbits,_ZL23ssm_conv_long_token_f32ILb0ELm128ELm9ELl32EEvPKfS1_S1_iiiiPfiiil,comdat
	.globl	_ZL23ssm_conv_long_token_f32ILb0ELm128ELm9ELl32EEvPKfS1_S1_iiiiPfiiil ; -- Begin function _ZL23ssm_conv_long_token_f32ILb0ELm128ELm9ELl32EEvPKfS1_S1_iiiiPfiiil
	.p2align	8
	.type	_ZL23ssm_conv_long_token_f32ILb0ELm128ELm9ELl32EEvPKfS1_S1_iiiiPfiiil,@function
_ZL23ssm_conv_long_token_f32ILb0ELm128ELm9ELl32EEvPKfS1_S1_iiiiPfiiil: ; @_ZL23ssm_conv_long_token_f32ILb0ELm128ELm9ELl32EEvPKfS1_S1_iiiiPfiiil
; %bb.0:
	s_load_dwordx2 s[12:13], s[4:5], 0x0
	s_load_dwordx4 s[0:3], s[4:5], 0x18
	s_mov_b32 s10, s7
	v_mul_u32_u24_e32 v1, 0x667, v0
	v_lshrrev_b32_e32 v4, 16, v1
	v_mul_lo_u16_e32 v1, 40, v4
	s_waitcnt lgkmcnt(0)
	s_mul_i32 s2, s2, s6
	s_ashr_i32 s7, s2, 31
	s_add_u32 s2, s12, s2
	s_addc_u32 s7, s13, s7
	s_ashr_i32 s11, s10, 31
	s_lshl_b64 s[12:13], s[10:11], 7
	s_ashr_i32 s9, s1, 31
	s_mul_i32 s9, s12, s9
	s_mul_hi_u32 s14, s12, s1
	s_lshr_b64 s[10:11], s[10:11], 25
	s_add_i32 s9, s14, s9
	s_mul_i32 s10, s10, s1
	s_add_i32 s9, s9, s10
	s_mul_i32 s10, s12, s1
	s_add_u32 s2, s2, s10
	s_addc_u32 s7, s7, s9
	s_ashr_i32 s9, s8, 31
	s_lshl_b64 s[14:15], s[8:9], 5
	s_ashr_i32 s10, s0, 31
	s_mul_i32 s10, s14, s10
	s_mul_hi_u32 s11, s14, s0
	s_lshr_b64 s[8:9], s[8:9], 27
	s_add_i32 s10, s11, s10
	s_mul_i32 s8, s8, s0
	s_add_i32 s10, s10, s8
	s_mul_i32 s0, s14, s0
	s_add_u32 s2, s2, s0
	s_addc_u32 s7, s7, s10
	s_ashr_i32 s20, s1, 2
	v_sub_u16_e32 v1, v0, v1
	v_mad_u64_u32 v[2:3], s[0:1], s20, v4, v[1:2]
	v_mov_b32_e32 v5, s7
	s_movk_i32 s9, 0xa0
	v_ashrrev_i32_e32 v3, 31, v2
	v_lshlrev_b64 v[2:3], 2, v[2:3]
	s_movk_i32 s8, 0x80
	v_add_co_u32_e32 v2, vcc, s2, v2
	v_addc_co_u32_e32 v3, vcc, v5, v3, vcc
	global_load_dword v2, v[2:3], off
	v_mul_u32_u24_e32 v3, 0xa0, v4
	v_lshlrev_b32_e32 v5, 2, v1
	v_add3_u32 v3, 0, v3, v5
	v_or_b32_e32 v1, 0x80, v1
	v_mov_b32_e32 v5, s7
	s_waitcnt vmcnt(0)
	ds_write_b32 v3, v2
	v_mul_lo_u16_e32 v2, 0xcd, v1
	v_lshrrev_b16_e32 v2, 13, v2
	v_add_u32_e32 v4, v4, v2
	v_mul_lo_u16_e32 v2, 40, v2
	v_sub_u16_e32 v1, v1, v2
	v_and_b32_e32 v1, 0xff, v1
	v_mad_u64_u32 v[2:3], s[0:1], v4, s20, v[1:2]
	v_ashrrev_i32_e32 v3, 31, v2
	v_lshlrev_b64 v[2:3], 2, v[2:3]
	v_add_co_u32_e32 v2, vcc, s2, v2
	v_addc_co_u32_e32 v3, vcc, v5, v3, vcc
	global_load_dword v2, v[2:3], off
	v_mul_u32_u24_e32 v3, 0xa0, v4
	v_lshlrev_b32_e32 v5, 2, v1
	v_add3_u32 v3, 0, v3, v5
	v_or_b32_e32 v1, 0x80, v1
	v_mov_b32_e32 v5, s7
	s_waitcnt vmcnt(0)
	ds_write_b32 v3, v2
	v_mul_lo_u16_e32 v2, 0xcd, v1
	v_lshrrev_b16_e32 v2, 13, v2
	v_add_u32_e32 v4, v4, v2
	v_mul_lo_u16_e32 v2, 40, v2
	v_sub_u16_e32 v1, v1, v2
	v_and_b32_e32 v1, 0xff, v1
	v_mad_u64_u32 v[2:3], s[0:1], v4, s20, v[1:2]
	v_ashrrev_i32_e32 v3, 31, v2
	v_lshlrev_b64 v[2:3], 2, v[2:3]
	;; [unrolled: 19-line block ×6, first 2 shown]
	v_add_co_u32_e32 v2, vcc, s2, v2
	v_addc_co_u32_e32 v3, vcc, v5, v3, vcc
	global_load_dword v2, v[2:3], off
	v_mul_lo_u32 v3, v4, s9
	v_lshlrev_b32_e32 v5, 2, v1
	v_or_b32_e32 v1, 0x80, v1
	v_add3_u32 v3, 0, v3, v5
	v_mov_b32_e32 v5, s7
	s_waitcnt vmcnt(0)
	ds_write_b32 v3, v2
	v_mul_lo_u16_e32 v2, 0xcd, v1
	v_lshrrev_b16_e32 v2, 13, v2
	v_add_u32_e32 v4, v4, v2
	v_mul_lo_u16_e32 v2, 40, v2
	v_sub_u16_e32 v1, v1, v2
	v_and_b32_e32 v1, 0xff, v1
	v_mad_u64_u32 v[2:3], s[0:1], v4, s20, v[1:2]
	v_ashrrev_i32_e32 v3, 31, v2
	v_lshlrev_b64 v[2:3], 2, v[2:3]
	v_add_co_u32_e32 v2, vcc, s2, v2
	v_addc_co_u32_e32 v3, vcc, v5, v3, vcc
	global_load_dword v2, v[2:3], off
	v_mul_lo_u32 v3, v4, s9
	v_lshlrev_b32_e32 v5, 2, v1
	v_or_b32_e32 v1, 0x80, v1
	v_add3_u32 v3, 0, v3, v5
	v_mov_b32_e32 v5, s7
	s_waitcnt vmcnt(0)
	ds_write_b32 v3, v2
	v_mul_lo_u16_e32 v2, 0xcd, v1
	v_lshrrev_b16_e32 v2, 13, v2
	v_add_u32_e32 v4, v4, v2
	v_mul_lo_u16_e32 v2, 40, v2
	v_sub_u16_e32 v1, v1, v2
	v_and_b32_e32 v1, 0xff, v1
	v_mad_u64_u32 v[2:3], s[0:1], v4, s20, v[1:2]
	v_ashrrev_i32_e32 v3, 31, v2
	v_lshlrev_b64 v[2:3], 2, v[2:3]
	;; [unrolled: 19-line block ×19, first 2 shown]
	v_add_co_u32_e32 v2, vcc, s2, v2
	v_addc_co_u32_e32 v3, vcc, v5, v3, vcc
	global_load_dword v2, v[2:3], off
	v_mul_lo_u32 v3, v4, s9
	v_lshlrev_b32_e32 v5, 2, v1
	v_or_b32_e32 v1, 0x80, v1
	v_add3_u32 v3, 0, v3, v5
	s_waitcnt vmcnt(0)
	ds_write_b32 v3, v2
	v_mul_lo_u16_e32 v2, 0xcd, v1
	v_lshrrev_b16_e32 v3, 13, v2
	v_add_u32_e32 v2, v4, v3
	v_mul_lo_u16_e32 v3, 40, v3
	v_sub_u16_e32 v1, v1, v3
	v_and_b32_e32 v1, 0xff, v1
	v_cmp_gt_u32_e32 vcc, s8, v2
	s_and_saveexec_b64 s[0:1], vcc
	s_cbranch_execz .LBB17_2
; %bb.1:
	v_mad_u64_u32 v[3:4], s[10:11], v2, s20, v[1:2]
	v_mov_b32_e32 v5, s7
	v_ashrrev_i32_e32 v4, 31, v3
	v_lshlrev_b64 v[3:4], 2, v[3:4]
	v_add_co_u32_e32 v3, vcc, s2, v3
	v_addc_co_u32_e32 v4, vcc, v5, v4, vcc
	global_load_dword v3, v[3:4], off
	v_mul_lo_u32 v4, v2, s9
	v_lshlrev_b32_e32 v5, 2, v1
	v_add3_u32 v4, 0, v4, v5
	s_waitcnt vmcnt(0)
	ds_write_b32 v4, v3
.LBB17_2:
	s_or_b64 exec, exec, s[0:1]
	v_or_b32_e32 v1, 0x80, v1
	v_mul_lo_u16_e32 v3, 0xcd, v1
	v_lshrrev_b16_e32 v3, 13, v3
	v_add_u32_e32 v2, v2, v3
	v_mul_lo_u16_e32 v3, 40, v3
	v_sub_u16_e32 v1, v1, v3
	v_and_b32_e32 v1, 0xff, v1
	v_cmp_gt_u32_e32 vcc, s8, v2
	s_and_saveexec_b64 s[0:1], vcc
	s_cbranch_execz .LBB17_4
; %bb.3:
	v_mad_u64_u32 v[3:4], s[8:9], v2, s20, v[1:2]
	v_mov_b32_e32 v5, s7
	s_movk_i32 s8, 0xa0
	v_ashrrev_i32_e32 v4, 31, v3
	v_lshlrev_b64 v[3:4], 2, v[3:4]
	v_add_co_u32_e32 v3, vcc, s2, v3
	v_addc_co_u32_e32 v4, vcc, v5, v4, vcc
	global_load_dword v3, v[3:4], off
	v_mul_lo_u32 v4, v2, s8
	v_lshlrev_b32_e32 v5, 2, v1
	v_add3_u32 v4, 0, v4, v5
	s_waitcnt vmcnt(0)
	ds_write_b32 v4, v3
.LBB17_4:
	s_or_b64 exec, exec, s[0:1]
	v_or_b32_e32 v1, 0x80, v1
	v_mul_lo_u16_e32 v3, 0xcd, v1
	v_lshrrev_b16_e32 v3, 13, v3
	v_add_u32_e32 v2, v2, v3
	v_mul_lo_u16_e32 v3, 40, v3
	s_movk_i32 s8, 0x80
	v_sub_u16_e32 v1, v1, v3
	v_and_b32_e32 v1, 0xff, v1
	v_cmp_gt_u32_e32 vcc, s8, v2
	s_and_saveexec_b64 s[0:1], vcc
	s_cbranch_execz .LBB17_6
; %bb.5:
	v_mad_u64_u32 v[3:4], s[10:11], v2, s20, v[1:2]
	v_mov_b32_e32 v5, s7
	s_movk_i32 s9, 0xa0
	v_ashrrev_i32_e32 v4, 31, v3
	v_lshlrev_b64 v[3:4], 2, v[3:4]
	v_add_co_u32_e32 v3, vcc, s2, v3
	v_addc_co_u32_e32 v4, vcc, v5, v4, vcc
	global_load_dword v3, v[3:4], off
	v_mul_lo_u32 v4, v2, s9
	v_lshlrev_b32_e32 v5, 2, v1
	v_add3_u32 v4, 0, v4, v5
	s_waitcnt vmcnt(0)
	ds_write_b32 v4, v3
.LBB17_6:
	s_or_b64 exec, exec, s[0:1]
	v_or_b32_e32 v1, 0x80, v1
	v_mul_lo_u16_e32 v3, 0xcd, v1
	v_lshrrev_b16_e32 v3, 13, v3
	v_add_u32_e32 v2, v2, v3
	v_mul_lo_u16_e32 v3, 40, v3
	v_sub_u16_e32 v1, v1, v3
	v_and_b32_e32 v1, 0xff, v1
	v_cmp_gt_u32_e32 vcc, s8, v2
	s_and_saveexec_b64 s[0:1], vcc
	s_cbranch_execz .LBB17_8
; %bb.7:
	v_mad_u64_u32 v[3:4], s[8:9], v2, s20, v[1:2]
	v_mov_b32_e32 v5, s7
	s_movk_i32 s8, 0xa0
	v_ashrrev_i32_e32 v4, 31, v3
	v_lshlrev_b64 v[3:4], 2, v[3:4]
	v_add_co_u32_e32 v3, vcc, s2, v3
	v_addc_co_u32_e32 v4, vcc, v5, v4, vcc
	global_load_dword v3, v[3:4], off
	v_mul_lo_u32 v4, v2, s8
	v_lshlrev_b32_e32 v5, 2, v1
	v_add3_u32 v4, 0, v4, v5
	s_waitcnt vmcnt(0)
	ds_write_b32 v4, v3
.LBB17_8:
	s_or_b64 exec, exec, s[0:1]
	v_or_b32_e32 v1, 0x80, v1
	v_mul_lo_u16_e32 v3, 0xcd, v1
	v_lshrrev_b16_e32 v3, 13, v3
	v_add_u32_e32 v2, v2, v3
	v_mul_lo_u16_e32 v3, 40, v3
	s_movk_i32 s8, 0x80
	v_sub_u16_e32 v1, v1, v3
	v_and_b32_e32 v1, 0xff, v1
	v_cmp_gt_u32_e32 vcc, s8, v2
	s_and_saveexec_b64 s[0:1], vcc
	s_cbranch_execz .LBB17_10
; %bb.9:
	v_mad_u64_u32 v[3:4], s[10:11], v2, s20, v[1:2]
	v_mov_b32_e32 v5, s7
	s_movk_i32 s9, 0xa0
	v_ashrrev_i32_e32 v4, 31, v3
	v_lshlrev_b64 v[3:4], 2, v[3:4]
	v_add_co_u32_e32 v3, vcc, s2, v3
	v_addc_co_u32_e32 v4, vcc, v5, v4, vcc
	global_load_dword v3, v[3:4], off
	v_mul_lo_u32 v4, v2, s9
	v_lshlrev_b32_e32 v5, 2, v1
	v_add3_u32 v4, 0, v4, v5
	s_waitcnt vmcnt(0)
	ds_write_b32 v4, v3
.LBB17_10:
	s_or_b64 exec, exec, s[0:1]
	v_or_b32_e32 v1, 0x80, v1
	v_mul_lo_u16_e32 v3, 0xcd, v1
	v_lshrrev_b16_e32 v3, 13, v3
	v_add_u32_e32 v2, v2, v3
	v_mul_lo_u16_e32 v3, 40, v3
	v_sub_u16_e32 v1, v1, v3
	v_and_b32_e32 v1, 0xff, v1
	v_cmp_gt_u32_e32 vcc, s8, v2
	s_and_saveexec_b64 s[0:1], vcc
	s_cbranch_execz .LBB17_12
; %bb.11:
	v_mad_u64_u32 v[3:4], s[8:9], v2, s20, v[1:2]
	v_mov_b32_e32 v5, s7
	s_movk_i32 s8, 0xa0
	v_ashrrev_i32_e32 v4, 31, v3
	v_lshlrev_b64 v[3:4], 2, v[3:4]
	v_add_co_u32_e32 v3, vcc, s2, v3
	v_addc_co_u32_e32 v4, vcc, v5, v4, vcc
	global_load_dword v3, v[3:4], off
	v_mul_lo_u32 v4, v2, s8
	v_lshlrev_b32_e32 v5, 2, v1
	v_add3_u32 v4, 0, v4, v5
	s_waitcnt vmcnt(0)
	ds_write_b32 v4, v3
.LBB17_12:
	s_or_b64 exec, exec, s[0:1]
	v_or_b32_e32 v1, 0x80, v1
	v_mul_lo_u16_e32 v3, 0xcd, v1
	v_lshrrev_b16_e32 v3, 13, v3
	v_add_u32_e32 v2, v2, v3
	v_mul_lo_u16_e32 v3, 40, v3
	s_movk_i32 s0, 0x80
	v_sub_u16_e32 v1, v1, v3
	v_and_b32_e32 v1, 0xff, v1
	v_cmp_gt_u32_e32 vcc, s0, v2
	s_and_saveexec_b64 s[0:1], vcc
	s_cbranch_execz .LBB17_14
; %bb.13:
	v_mad_u64_u32 v[3:4], s[8:9], v2, s20, v[1:2]
	v_mov_b32_e32 v5, s7
	s_movk_i32 s8, 0xa0
	v_ashrrev_i32_e32 v4, 31, v3
	v_lshlrev_b64 v[3:4], 2, v[3:4]
	v_add_co_u32_e32 v3, vcc, s2, v3
	v_addc_co_u32_e32 v4, vcc, v5, v4, vcc
	global_load_dword v3, v[3:4], off
	v_mul_lo_u32 v4, v2, s8
	v_lshlrev_b32_e32 v5, 2, v1
	v_add3_u32 v4, 0, v4, v5
	s_waitcnt vmcnt(0)
	ds_write_b32 v4, v3
.LBB17_14:
	s_or_b64 exec, exec, s[0:1]
	s_load_dwordx4 s[8:11], s[4:5], 0x8
	s_load_dwordx2 s[0:1], s[4:5], 0x28
	s_movk_i32 s16, 0x380
	v_cmp_gt_u32_e32 vcc, s16, v0
	s_and_saveexec_b64 s[16:17], vcc
	s_cbranch_execz .LBB17_35
; %bb.15:
	v_or_b32_e32 v1, 0x80, v1
	v_mul_lo_u16_e32 v3, 0xcd, v1
	v_lshrrev_b16_e32 v3, 13, v3
	v_add_u32_e32 v2, v2, v3
	v_mul_lo_u16_e32 v3, 40, v3
	s_movk_i32 s18, 0x80
	v_sub_u16_e32 v1, v1, v3
	v_and_b32_e32 v1, 0xff, v1
	v_cmp_gt_u32_e32 vcc, s18, v2
	s_and_saveexec_b64 s[18:19], vcc
	s_cbranch_execz .LBB17_17
; %bb.16:
	v_mad_u64_u32 v[3:4], s[22:23], v2, s20, v[1:2]
	v_mov_b32_e32 v5, s7
	s_movk_i32 s21, 0xa0
	v_ashrrev_i32_e32 v4, 31, v3
	v_lshlrev_b64 v[3:4], 2, v[3:4]
	v_add_co_u32_e32 v3, vcc, s2, v3
	v_addc_co_u32_e32 v4, vcc, v5, v4, vcc
	global_load_dword v3, v[3:4], off
	v_mul_lo_u32 v4, v2, s21
	v_lshlrev_b32_e32 v5, 2, v1
	v_add3_u32 v4, 0, v4, v5
	s_waitcnt vmcnt(0)
	ds_write_b32 v4, v3
.LBB17_17:
	s_or_b64 exec, exec, s[18:19]
	s_movk_i32 s18, 0x300
	v_cmp_gt_u32_e32 vcc, s18, v0
	s_and_b64 exec, exec, vcc
	s_cbranch_execz .LBB17_35
; %bb.18:
	v_or_b32_e32 v1, 0x80, v1
	v_mul_lo_u16_e32 v3, 0xcd, v1
	v_lshrrev_b16_e32 v3, 13, v3
	v_add_u32_e32 v2, v2, v3
	v_mul_lo_u16_e32 v3, 40, v3
	s_movk_i32 s18, 0x80
	v_sub_u16_e32 v1, v1, v3
	v_and_b32_e32 v1, 0xff, v1
	v_cmp_gt_u32_e32 vcc, s18, v2
	s_and_saveexec_b64 s[18:19], vcc
	s_cbranch_execz .LBB17_20
; %bb.19:
	v_mad_u64_u32 v[3:4], s[22:23], v2, s20, v[1:2]
	v_mov_b32_e32 v5, s7
	s_movk_i32 s21, 0xa0
	v_ashrrev_i32_e32 v4, 31, v3
	v_lshlrev_b64 v[3:4], 2, v[3:4]
	v_add_co_u32_e32 v3, vcc, s2, v3
	v_addc_co_u32_e32 v4, vcc, v5, v4, vcc
	global_load_dword v3, v[3:4], off
	v_mul_lo_u32 v4, v2, s21
	v_lshlrev_b32_e32 v5, 2, v1
	v_add3_u32 v4, 0, v4, v5
	s_waitcnt vmcnt(0)
	ds_write_b32 v4, v3
.LBB17_20:
	s_or_b64 exec, exec, s[18:19]
	s_movk_i32 s18, 0x280
	v_cmp_gt_u32_e32 vcc, s18, v0
	s_and_b64 exec, exec, vcc
	;; [unrolled: 32-line block ×5, first 2 shown]
	s_cbranch_execz .LBB17_35
; %bb.30:
	v_or_b32_e32 v1, 0x80, v1
	v_mul_lo_u16_e32 v3, 0xcd, v1
	v_lshrrev_b16_e32 v3, 13, v3
	v_add_u32_e32 v2, v2, v3
	v_mul_lo_u16_e32 v3, 40, v3
	s_movk_i32 s21, 0x80
	v_sub_u16_e32 v1, v1, v3
	v_and_b32_e32 v1, 0xff, v1
	v_cmp_gt_u32_e32 vcc, s21, v2
	s_and_saveexec_b64 s[18:19], vcc
	s_cbranch_execz .LBB17_32
; %bb.31:
	v_mad_u64_u32 v[3:4], s[22:23], v2, s20, v[1:2]
	v_mov_b32_e32 v5, s7
	s_movk_i32 s22, 0xa0
	v_ashrrev_i32_e32 v4, 31, v3
	v_lshlrev_b64 v[3:4], 2, v[3:4]
	v_add_co_u32_e32 v3, vcc, s2, v3
	v_addc_co_u32_e32 v4, vcc, v5, v4, vcc
	global_load_dword v3, v[3:4], off
	v_mul_lo_u32 v4, v2, s22
	v_lshlrev_b32_e32 v5, 2, v1
	v_add3_u32 v4, 0, v4, v5
	s_waitcnt vmcnt(0)
	ds_write_b32 v4, v3
.LBB17_32:
	s_or_b64 exec, exec, s[18:19]
	v_cmp_gt_u32_e32 vcc, s21, v0
	s_and_b64 exec, exec, vcc
	s_cbranch_execz .LBB17_35
; %bb.33:
	v_or_b32_e32 v3, 0x80, v1
	v_mul_lo_u16_e32 v1, 0xcd, v3
	v_lshrrev_b16_e32 v4, 13, v1
	s_movk_i32 s18, 0x80
	v_add_u32_e32 v1, v2, v4
	v_cmp_gt_u32_e32 vcc, s18, v1
	s_and_b64 exec, exec, vcc
	s_cbranch_execz .LBB17_35
; %bb.34:
	v_mul_lo_u16_e32 v2, 40, v4
	v_sub_u16_e32 v2, v3, v2
	v_and_b32_e32 v2, 0xff, v2
	v_mad_u64_u32 v[3:4], s[18:19], v1, s20, v[2:3]
	v_mov_b32_e32 v5, s7
	v_lshlrev_b32_e32 v2, 2, v2
	v_ashrrev_i32_e32 v4, 31, v3
	v_lshlrev_b64 v[3:4], 2, v[3:4]
	v_add_co_u32_e32 v3, vcc, s2, v3
	v_addc_co_u32_e32 v4, vcc, v5, v4, vcc
	global_load_dword v3, v[3:4], off
	s_movk_i32 s2, 0xa0
	v_mul_lo_u32 v1, v1, s2
	v_add3_u32 v1, 0, v1, v2
	s_waitcnt vmcnt(0)
	ds_write_b32 v1, v3
.LBB17_35:
	s_or_b64 exec, exec, s[16:17]
	s_ashr_i32 s2, s3, 31
	s_mul_hi_u32 s7, s12, s3
	s_mul_i32 s2, s12, s2
	s_add_i32 s2, s7, s2
	s_mul_i32 s7, s13, s3
	s_add_i32 s2, s2, s7
	s_mul_i32 s7, s12, s3
	s_waitcnt lgkmcnt(0)
	s_add_u32 s7, s8, s7
	s_addc_u32 s2, s9, s2
	s_ashr_i32 s3, s3, 2
	v_mul_lo_u32 v1, s3, v0
	v_mov_b32_e32 v3, s2
	s_barrier
	v_ashrrev_i32_e32 v2, 31, v1
	v_lshlrev_b64 v[1:2], 2, v[1:2]
	v_add_co_u32_e32 v9, vcc, s7, v1
	v_addc_co_u32_e32 v10, vcc, v3, v2, vcc
	global_load_dword v13, v[9:10], off offset:32
	global_load_dwordx4 v[1:4], v[9:10], off offset:16
	global_load_dwordx4 v[5:8], v[9:10], off
	s_cmp_eq_u64 s[10:11], 0
	v_lshlrev_b32_e32 v9, 2, v0
	s_cbranch_scc1 .LBB17_37
; %bb.36:
	s_lshl_b64 s[2:3], s[12:13], 2
	s_add_u32 s2, s10, s2
	s_addc_u32 s3, s11, s3
	global_load_dword v14, v9, s[2:3]
	s_branch .LBB17_38
.LBB17_37:
	v_mov_b32_e32 v14, 0
.LBB17_38:
	s_load_dwordx2 s[2:3], s[4:5], 0x40
	s_waitcnt lgkmcnt(0)
	s_sub_u32 s2, s2, s14
	s_subb_u32 s3, s3, s15
	v_cmp_lt_i64_e64 s[8:9], s[2:3], 1
	s_and_b64 vcc, exec, s[8:9]
	s_cbranch_vccnz .LBB17_41
; %bb.39:
	s_load_dwordx4 s[8:11], s[4:5], 0x30
	s_waitcnt lgkmcnt(0)
	s_ashr_i32 s4, s9, 31
	s_mul_hi_u32 s5, s14, s9
	s_mul_i32 s4, s14, s4
	s_mul_i32 s10, s10, s6
	;; [unrolled: 1-line block ×3, first 2 shown]
	s_add_i32 s4, s5, s4
	s_add_i32 s15, s4, s6
	s_ashr_i32 s4, s8, 31
	s_mul_hi_u32 s5, s12, s8
	s_mul_i32 s4, s12, s4
	s_add_i32 s4, s5, s4
	s_mul_i32 s5, s13, s8
	s_add_i32 s13, s4, s5
	s_ashr_i32 s4, s9, 2
	s_movk_i32 s5, 0xa0
	v_cmp_lt_u64_e64 s[6:7], s[2:3], 32
	s_ashr_i32 s11, s10, 31
	v_mad_u32_u24 v0, v0, s5, 0
	s_ashr_i32 s5, s4, 31
	s_mul_i32 s14, s14, s9
	s_mul_i32 s8, s12, s8
	s_and_b64 s[6:7], s[6:7], exec
	s_cselect_b32 s3, s3, 0
	s_cselect_b32 s2, s2, 32
	s_add_u32 s6, s8, s14
	s_addc_u32 s7, s13, s15
	s_add_u32 s0, s0, s10
	s_addc_u32 s1, s1, s11
	ds_read_b32 v11, v0
	s_add_u32 s0, s0, s6
	s_addc_u32 s1, s1, s7
	v_mov_b32_e32 v10, s1
	v_add_co_u32_e32 v9, vcc, s0, v9
	s_lshl_b64 s[0:1], s[4:5], 2
	v_addc_co_u32_e32 v10, vcc, 0, v10, vcc
	v_mov_b32_e32 v15, s1
	s_waitcnt vmcnt(0)
.LBB17_40:                              ; =>This Inner Loop Header: Depth=1
	s_waitcnt lgkmcnt(0)
	v_fma_f32 v22, v5, v11, 0
	ds_read2_b32 v[11:12], v0 offset0:1 offset1:2
	ds_read2_b32 v[16:17], v0 offset0:3 offset1:4
	;; [unrolled: 1-line block ×4, first 2 shown]
	s_add_u32 s2, s2, -1
	s_waitcnt lgkmcnt(3)
	v_fmac_f32_e32 v22, v6, v11
	v_fmac_f32_e32 v22, v7, v12
	s_waitcnt lgkmcnt(2)
	v_fmac_f32_e32 v22, v8, v16
	v_fmac_f32_e32 v22, v1, v17
	;; [unrolled: 3-line block ×4, first 2 shown]
	v_add_f32_e32 v12, v14, v22
	s_addc_u32 s3, s3, -1
	global_store_dword v[9:10], v12, off
	v_add_co_u32_e32 v9, vcc, s0, v9
	v_add_u32_e32 v0, 4, v0
	s_cmp_lg_u64 s[2:3], 0
	v_addc_co_u32_e32 v10, vcc, v10, v15, vcc
	s_cbranch_scc1 .LBB17_40
.LBB17_41:
	s_endpgm
	.section	.rodata,"a",@progbits
	.p2align	6, 0x0
	.amdhsa_kernel _ZL23ssm_conv_long_token_f32ILb0ELm128ELm9ELl32EEvPKfS1_S1_iiiiPfiiil
		.amdhsa_group_segment_fixed_size 0
		.amdhsa_private_segment_fixed_size 0
		.amdhsa_kernarg_size 72
		.amdhsa_user_sgpr_count 6
		.amdhsa_user_sgpr_private_segment_buffer 1
		.amdhsa_user_sgpr_dispatch_ptr 0
		.amdhsa_user_sgpr_queue_ptr 0
		.amdhsa_user_sgpr_kernarg_segment_ptr 1
		.amdhsa_user_sgpr_dispatch_id 0
		.amdhsa_user_sgpr_flat_scratch_init 0
		.amdhsa_user_sgpr_private_segment_size 0
		.amdhsa_uses_dynamic_stack 0
		.amdhsa_system_sgpr_private_segment_wavefront_offset 0
		.amdhsa_system_sgpr_workgroup_id_x 1
		.amdhsa_system_sgpr_workgroup_id_y 1
		.amdhsa_system_sgpr_workgroup_id_z 1
		.amdhsa_system_sgpr_workgroup_info 0
		.amdhsa_system_vgpr_workitem_id 0
		.amdhsa_next_free_vgpr 23
		.amdhsa_next_free_sgpr 24
		.amdhsa_reserve_vcc 1
		.amdhsa_reserve_flat_scratch 0
		.amdhsa_float_round_mode_32 0
		.amdhsa_float_round_mode_16_64 0
		.amdhsa_float_denorm_mode_32 3
		.amdhsa_float_denorm_mode_16_64 3
		.amdhsa_dx10_clamp 1
		.amdhsa_ieee_mode 1
		.amdhsa_fp16_overflow 0
		.amdhsa_exception_fp_ieee_invalid_op 0
		.amdhsa_exception_fp_denorm_src 0
		.amdhsa_exception_fp_ieee_div_zero 0
		.amdhsa_exception_fp_ieee_overflow 0
		.amdhsa_exception_fp_ieee_underflow 0
		.amdhsa_exception_fp_ieee_inexact 0
		.amdhsa_exception_int_div_zero 0
	.end_amdhsa_kernel
	.section	.text._ZL23ssm_conv_long_token_f32ILb0ELm128ELm9ELl32EEvPKfS1_S1_iiiiPfiiil,"axG",@progbits,_ZL23ssm_conv_long_token_f32ILb0ELm128ELm9ELl32EEvPKfS1_S1_iiiiPfiiil,comdat
.Lfunc_end17:
	.size	_ZL23ssm_conv_long_token_f32ILb0ELm128ELm9ELl32EEvPKfS1_S1_iiiiPfiiil, .Lfunc_end17-_ZL23ssm_conv_long_token_f32ILb0ELm128ELm9ELl32EEvPKfS1_S1_iiiiPfiiil
                                        ; -- End function
	.set _ZL23ssm_conv_long_token_f32ILb0ELm128ELm9ELl32EEvPKfS1_S1_iiiiPfiiil.num_vgpr, 23
	.set _ZL23ssm_conv_long_token_f32ILb0ELm128ELm9ELl32EEvPKfS1_S1_iiiiPfiiil.num_agpr, 0
	.set _ZL23ssm_conv_long_token_f32ILb0ELm128ELm9ELl32EEvPKfS1_S1_iiiiPfiiil.numbered_sgpr, 24
	.set _ZL23ssm_conv_long_token_f32ILb0ELm128ELm9ELl32EEvPKfS1_S1_iiiiPfiiil.num_named_barrier, 0
	.set _ZL23ssm_conv_long_token_f32ILb0ELm128ELm9ELl32EEvPKfS1_S1_iiiiPfiiil.private_seg_size, 0
	.set _ZL23ssm_conv_long_token_f32ILb0ELm128ELm9ELl32EEvPKfS1_S1_iiiiPfiiil.uses_vcc, 1
	.set _ZL23ssm_conv_long_token_f32ILb0ELm128ELm9ELl32EEvPKfS1_S1_iiiiPfiiil.uses_flat_scratch, 0
	.set _ZL23ssm_conv_long_token_f32ILb0ELm128ELm9ELl32EEvPKfS1_S1_iiiiPfiiil.has_dyn_sized_stack, 0
	.set _ZL23ssm_conv_long_token_f32ILb0ELm128ELm9ELl32EEvPKfS1_S1_iiiiPfiiil.has_recursion, 0
	.set _ZL23ssm_conv_long_token_f32ILb0ELm128ELm9ELl32EEvPKfS1_S1_iiiiPfiiil.has_indirect_call, 0
	.section	.AMDGPU.csdata,"",@progbits
; Kernel info:
; codeLenInByte = 5536
; TotalNumSgprs: 28
; NumVgprs: 23
; ScratchSize: 0
; MemoryBound: 0
; FloatMode: 240
; IeeeMode: 1
; LDSByteSize: 0 bytes/workgroup (compile time only)
; SGPRBlocks: 3
; VGPRBlocks: 5
; NumSGPRsForWavesPerEU: 28
; NumVGPRsForWavesPerEU: 23
; Occupancy: 10
; WaveLimiterHint : 0
; COMPUTE_PGM_RSRC2:SCRATCH_EN: 0
; COMPUTE_PGM_RSRC2:USER_SGPR: 6
; COMPUTE_PGM_RSRC2:TRAP_HANDLER: 0
; COMPUTE_PGM_RSRC2:TGID_X_EN: 1
; COMPUTE_PGM_RSRC2:TGID_Y_EN: 1
; COMPUTE_PGM_RSRC2:TGID_Z_EN: 1
; COMPUTE_PGM_RSRC2:TIDIG_COMP_CNT: 0
	.section	.text._ZL12ssm_conv_f32ILb0ELm128ELm15EEvPKfS1_S1_iiiiPfiiil,"axG",@progbits,_ZL12ssm_conv_f32ILb0ELm128ELm15EEvPKfS1_S1_iiiiPfiiil,comdat
	.globl	_ZL12ssm_conv_f32ILb0ELm128ELm15EEvPKfS1_S1_iiiiPfiiil ; -- Begin function _ZL12ssm_conv_f32ILb0ELm128ELm15EEvPKfS1_S1_iiiiPfiiil
	.p2align	8
	.type	_ZL12ssm_conv_f32ILb0ELm128ELm15EEvPKfS1_S1_iiiiPfiiil,@function
_ZL12ssm_conv_f32ILb0ELm128ELm15EEvPKfS1_S1_iiiiPfiiil: ; @_ZL12ssm_conv_f32ILb0ELm128ELm15EEvPKfS1_S1_iiiiPfiiil
; %bb.0:
	s_load_dwordx4 s[12:15], s[4:5], 0x1c
	s_load_dwordx4 s[0:3], s[4:5], 0x0
	s_load_dwordx2 s[8:9], s[4:5], 0x10
	s_mov_b32 s10, s7
	s_ashr_i32 s11, s7, 31
	s_lshl_b64 s[16:17], s[10:11], 7
	s_waitcnt lgkmcnt(0)
	s_ashr_i32 s7, s14, 31
	s_mul_i32 s7, s16, s7
	s_mul_hi_u32 s15, s16, s14
	s_lshr_b64 s[10:11], s[10:11], 25
	s_add_i32 s7, s15, s7
	s_mul_i32 s10, s10, s14
	s_add_i32 s7, s7, s10
	s_mul_i32 s10, s16, s14
	s_add_u32 s19, s2, s10
	s_addc_u32 s7, s3, s7
	s_cmp_eq_u64 s[8:9], 0
	v_lshlrev_b32_e32 v15, 2, v0
	s_cbranch_scc1 .LBB18_2
; %bb.1:
	s_lshl_b64 s[2:3], s[16:17], 2
	s_add_u32 s2, s8, s2
	s_addc_u32 s3, s9, s3
	global_load_dword v35, v15, s[2:3]
	s_load_dwordx2 s[2:3], s[4:5], 0x40
	s_waitcnt lgkmcnt(0)
	v_cmp_lt_i64_e64 s[8:9], s[2:3], 1
	s_and_b64 vcc, exec, s[8:9]
	s_cbranch_vccz .LBB18_3
	s_branch .LBB18_6
.LBB18_2:
	v_mov_b32_e32 v35, 0
	s_load_dwordx2 s[2:3], s[4:5], 0x40
	s_waitcnt lgkmcnt(0)
	v_cmp_lt_i64_e64 s[8:9], s[2:3], 1
	s_and_b64 vcc, exec, s[8:9]
	s_cbranch_vccnz .LBB18_6
.LBB18_3:
	s_ashr_i32 s8, s14, 2
	v_mul_lo_u32 v1, s8, v0
	s_load_dwordx2 s[14:15], s[4:5], 0x28
	s_load_dwordx4 s[8:11], s[4:5], 0x30
	s_ashr_i32 s4, s12, 31
	s_mul_hi_u32 s5, s16, s12
	s_mul_i32 s4, s16, s4
	s_add_i32 s4, s5, s4
	s_mul_i32 s5, s17, s12
	v_mov_b32_e32 v3, s7
	s_mul_i32 s7, s13, s6
	s_add_i32 s13, s4, s5
	s_waitcnt lgkmcnt(0)
	s_mul_i32 s4, s10, s6
	s_ashr_i32 s11, s7, 31
	s_ashr_i32 s5, s4, 31
	s_add_u32 s10, s14, s4
	s_addc_u32 s20, s15, s5
	s_ashr_i32 s6, s8, 31
	s_mul_hi_u32 s21, s16, s8
	s_mul_i32 s6, s16, s6
	s_add_i32 s6, s21, s6
	s_mul_i32 s17, s17, s8
	s_add_i32 s6, s6, s17
	s_mul_i32 s8, s16, s8
	s_mul_i32 s18, s16, s12
	s_add_u32 s16, s10, s8
	s_addc_u32 s17, s20, s6
	s_add_u32 s10, s0, s7
	s_addc_u32 s20, s1, s11
	;; [unrolled: 2-line block ×3, first 2 shown]
	s_ashr_i32 s12, s12, 2
	v_mul_lo_u32 v0, s12, v0
	v_ashrrev_i32_e32 v2, 31, v1
	v_lshlrev_b64 v[1:2], 2, v[1:2]
	s_cmp_eq_u64 s[2:3], 1
	v_add_co_u32_e32 v28, vcc, s19, v1
	v_ashrrev_i32_e32 v1, 31, v0
	v_lshlrev_b64 v[31:32], 2, v[0:1]
	v_addc_co_u32_e32 v29, vcc, v3, v2, vcc
	v_mov_b32_e32 v0, s20
	v_add_co_u32_e32 v12, vcc, s10, v31
	v_addc_co_u32_e32 v13, vcc, v0, v32, vcc
	global_load_dwordx4 v[0:3], v[12:13], off
	global_load_dwordx4 v[16:19], v[28:29], off
	global_load_dwordx4 v[20:23], v[28:29], off offset:16
	global_load_dwordx4 v[4:7], v[12:13], off offset:16
	;; [unrolled: 1-line block ×4, first 2 shown]
	s_nop 0
	global_load_dwordx3 v[12:14], v[12:13], off offset:48
	s_nop 0
	global_load_dwordx3 v[28:30], v[28:29], off offset:48
	s_waitcnt vmcnt(6)
	v_fma_f32 v33, v0, v16, 0
	v_fmac_f32_e32 v33, v1, v17
	v_fmac_f32_e32 v33, v2, v18
	v_fmac_f32_e32 v33, v3, v19
	s_waitcnt vmcnt(4)
	v_fmac_f32_e32 v33, v4, v20
	v_fmac_f32_e32 v33, v5, v21
	v_fmac_f32_e32 v33, v6, v22
	v_fmac_f32_e32 v33, v7, v23
	s_waitcnt vmcnt(2)
	v_fmac_f32_e32 v33, v8, v24
	;; [unrolled: 5-line block ×3, first 2 shown]
	v_fmac_f32_e32 v33, v13, v29
	v_fmac_f32_e32 v33, v14, v30
	v_add_f32_e32 v33, v35, v33
	global_store_dword v15, v33, s[16:17]
	s_cbranch_scc1 .LBB18_6
; %bb.4:
	s_ashr_i32 s16, s9, 2
	s_ashr_i32 s17, s16, 31
	s_add_u32 s2, s2, -1
	s_addc_u32 s3, s3, -1
	s_add_u32 s0, s0, s7
	s_addc_u32 s1, s1, s11
	s_add_u32 s0, s0, s18
	s_addc_u32 s1, s1, s13
	v_mov_b32_e32 v33, s1
	v_add_co_u32_e32 v31, vcc, s0, v31
	s_lshl_b64 s[0:1], s[16:17], 2
	s_add_u32 s7, s8, s0
	s_addc_u32 s6, s6, s1
	s_add_u32 s4, s14, s4
	v_addc_co_u32_e32 v32, vcc, v33, v32, vcc
	s_addc_u32 s5, s15, s5
	v_add_co_u32_e32 v31, vcc, 60, v31
	s_add_u32 s4, s4, s7
	v_addc_co_u32_e32 v32, vcc, 0, v32, vcc
	s_addc_u32 s5, s5, s6
	v_mov_b32_e32 v34, s5
	v_add_co_u32_e32 v33, vcc, s4, v15
	v_addc_co_u32_e32 v34, vcc, 0, v34, vcc
	s_mov_b64 s[4:5], 1
	s_mov_b64 s[6:7], 0
	;; [unrolled: 1-line block ×16, first 2 shown]
.LBB18_5:                               ; =>This Inner Loop Header: Depth=1
	s_mul_i32 s57, s5, 0x88888889
	s_mul_hi_u32 s61, s4, 0x88888889
	s_mul_hi_u32 s54, s5, 0x88888889
	s_add_u32 s57, s57, s61
	s_mul_i32 s43, s4, 0x88888888
	s_addc_u32 s92, s54, 0
	s_mul_hi_u32 s42, s4, 0x88888888
	s_add_u32 s43, s43, s57
	s_addc_u32 s42, s42, 0
	s_add_u32 s42, s92, s42
	s_mul_i32 s74, s5, 0x88888888
	s_addc_u32 s43, 0, 0
	s_mul_hi_u32 s68, s5, 0x88888888
	s_add_u32 s42, s74, s42
	s_addc_u32 s43, s68, s43
	s_mul_i32 s77, s9, 0x88888889
	s_mul_hi_u32 s91, s8, 0x88888889
	s_lshr_b64 s[42:43], s[42:43], 3
	s_mul_hi_u32 s73, s9, 0x88888889
	s_add_u32 s43, s77, s91
	s_mul_i32 s70, s8, 0x88888888
	s_addc_u32 s91, s73, 0
	s_mul_hi_u32 s38, s8, 0x88888888
	s_add_u32 s43, s70, s43
	s_addc_u32 s38, s38, 0
	s_add_u32 s38, s91, s38
	s_mul_i32 s72, s9, 0x88888888
	s_addc_u32 s43, 0, 0
	s_mul_hi_u32 s39, s9, 0x88888888
	s_add_u32 s38, s72, s38
	s_addc_u32 s39, s39, s43
	s_mul_i32 s75, s11, 0x88888889
	s_mul_hi_u32 s86, s10, 0x88888889
	s_lshr_b64 s[38:39], s[38:39], 3
	;; [unrolled: 16-line block ×7, first 2 shown]
	s_mul_hi_u32 s64, s21, 0x88888889
	s_add_u32 s51, s66, s71
	s_mul_i32 s55, s20, 0x88888888
	s_addc_u32 s53, s64, 0
	s_mul_hi_u32 s52, s20, 0x88888888
	s_add_u32 s51, s55, s51
	s_addc_u32 s52, s52, 0
	s_add_u32 s52, s53, s52
	global_load_dword v15, v[31:32], off
	s_mul_i32 s61, s21, 0x88888888
	s_addc_u32 s53, 0, 0
	s_mul_hi_u32 s58, s21, 0x88888888
	s_add_u32 s52, s61, s52
	s_addc_u32 s53, s58, s53
	s_mul_i32 s74, s23, 0x88888889
	s_mul_hi_u32 s77, s22, 0x88888889
	s_lshr_b64 s[52:53], s[52:53], 3
	s_mul_hi_u32 s68, s23, 0x88888889
	s_add_u32 s53, s74, s77
	s_mul_i32 s57, s22, 0x88888888
	s_addc_u32 s55, s68, 0
	s_mul_hi_u32 s54, s22, 0x88888888
	s_add_u32 s53, s57, s53
	s_addc_u32 s54, s54, 0
	s_add_u32 s54, s55, s54
	s_mul_i32 s73, s23, 0x88888888
	s_addc_u32 s55, 0, 0
	s_mul_hi_u32 s70, s23, 0x88888888
	s_add_u32 s54, s73, s54
	s_addc_u32 s55, s70, s55
	s_mul_i32 s81, s25, 0x88888889
	s_mul_hi_u32 s82, s24, 0x88888889
	s_lshr_b64 s[54:55], s[54:55], 3
	s_mul_hi_u32 s75, s25, 0x88888889
	s_add_u32 s55, s81, s82
	s_mul_i32 s72, s24, 0x88888888
	s_addc_u32 s56, s75, 0
	s_mul_hi_u32 s43, s24, 0x88888888
	s_add_u32 s55, s72, s55
	s_addc_u32 s43, s43, 0
	s_add_u32 s43, s56, s43
	;; [unrolled: 16-line block ×8, first 2 shown]
	s_mul_i32 s59, s7, 0x88888888
	s_addc_u32 s39, 0, 0
	s_mul_hi_u32 s81, s7, 0x88888888
	s_add_u32 s68, s59, s33
	s_addc_u32 s69, s81, s39
	s_lshr_b64 s[68:69], s[68:69], 3
	s_mul_i32 s33, s68, -15
	s_add_i32 s33, s6, s33
	s_waitcnt vmcnt(0)
	s_set_gpr_idx_on s33, gpr_idx(DST)
	v_mov_b32_e32 v0, v15
	s_set_gpr_idx_off
	s_mul_i32 s33, s42, 15
	s_sub_i32 s33, s6, s33
	s_add_i32 s33, s33, 1
	s_mul_i32 s39, s66, 15
	s_add_u32 s4, s4, 1
	s_addc_u32 s5, s5, 0
	s_sub_i32 s39, s6, s39
	s_set_gpr_idx_on s33, gpr_idx(SRC0)
	v_mov_b32_e32 v36, v0
	s_set_gpr_idx_off
	s_mul_i32 s33, s64, 15
	s_add_i32 s39, s39, 2
	s_sub_i32 s33, s6, s33
	v_fma_f32 v36, v36, v16, 0
	s_set_gpr_idx_on s39, gpr_idx(SRC0)
	v_mov_b32_e32 v37, v0
	s_set_gpr_idx_off
	s_add_i32 s33, s33, 3
	v_fmac_f32_e32 v36, v37, v17
	s_set_gpr_idx_on s33, gpr_idx(SRC0)
	v_mov_b32_e32 v37, v0
	s_set_gpr_idx_off
	s_mul_i32 s33, s62, 15
	s_sub_i32 s33, s6, s33
	s_add_i32 s33, s33, 4
	v_fmac_f32_e32 v36, v37, v18
	s_set_gpr_idx_on s33, gpr_idx(SRC0)
	v_mov_b32_e32 v37, v0
	s_set_gpr_idx_off
	s_mul_i32 s33, s60, 15
	s_sub_i32 s33, s6, s33
	;; [unrolled: 7-line block ×12, first 2 shown]
	s_add_i32 s33, s33, 15
	s_add_u32 s6, s6, 1
	s_addc_u32 s7, s7, 0
	s_add_u32 s8, s8, 1
	s_addc_u32 s9, s9, 0
	;; [unrolled: 2-line block ×12, first 2 shown]
	v_fmac_f32_e32 v36, v37, v29
	s_set_gpr_idx_on s33, gpr_idx(SRC0)
	v_mov_b32_e32 v15, v0
	s_set_gpr_idx_off
	s_add_u32 s30, s30, 1
	v_fmac_f32_e32 v36, v15, v30
	s_addc_u32 s31, s31, 0
	v_add_f32_e32 v15, v35, v36
	s_add_u32 s34, s34, 1
	global_store_dword v[33:34], v15, off
	v_mov_b32_e32 v15, s1
	v_add_co_u32_e32 v33, vcc, s0, v33
	s_addc_u32 s35, s35, 0
	v_addc_co_u32_e32 v34, vcc, v34, v15, vcc
	s_add_u32 s36, s36, 1
	v_add_co_u32_e32 v31, vcc, 4, v31
	s_addc_u32 s37, s37, 0
	s_cmp_eq_u64 s[2:3], s[6:7]
	v_addc_co_u32_e32 v32, vcc, 0, v32, vcc
	s_cbranch_scc0 .LBB18_5
.LBB18_6:
	s_endpgm
	.section	.rodata,"a",@progbits
	.p2align	6, 0x0
	.amdhsa_kernel _ZL12ssm_conv_f32ILb0ELm128ELm15EEvPKfS1_S1_iiiiPfiiil
		.amdhsa_group_segment_fixed_size 0
		.amdhsa_private_segment_fixed_size 0
		.amdhsa_kernarg_size 72
		.amdhsa_user_sgpr_count 6
		.amdhsa_user_sgpr_private_segment_buffer 1
		.amdhsa_user_sgpr_dispatch_ptr 0
		.amdhsa_user_sgpr_queue_ptr 0
		.amdhsa_user_sgpr_kernarg_segment_ptr 1
		.amdhsa_user_sgpr_dispatch_id 0
		.amdhsa_user_sgpr_flat_scratch_init 0
		.amdhsa_user_sgpr_private_segment_size 0
		.amdhsa_uses_dynamic_stack 0
		.amdhsa_system_sgpr_private_segment_wavefront_offset 0
		.amdhsa_system_sgpr_workgroup_id_x 1
		.amdhsa_system_sgpr_workgroup_id_y 1
		.amdhsa_system_sgpr_workgroup_id_z 0
		.amdhsa_system_sgpr_workgroup_info 0
		.amdhsa_system_vgpr_workitem_id 0
		.amdhsa_next_free_vgpr 38
		.amdhsa_next_free_sgpr 93
		.amdhsa_reserve_vcc 1
		.amdhsa_reserve_flat_scratch 0
		.amdhsa_float_round_mode_32 0
		.amdhsa_float_round_mode_16_64 0
		.amdhsa_float_denorm_mode_32 3
		.amdhsa_float_denorm_mode_16_64 3
		.amdhsa_dx10_clamp 1
		.amdhsa_ieee_mode 1
		.amdhsa_fp16_overflow 0
		.amdhsa_exception_fp_ieee_invalid_op 0
		.amdhsa_exception_fp_denorm_src 0
		.amdhsa_exception_fp_ieee_div_zero 0
		.amdhsa_exception_fp_ieee_overflow 0
		.amdhsa_exception_fp_ieee_underflow 0
		.amdhsa_exception_fp_ieee_inexact 0
		.amdhsa_exception_int_div_zero 0
	.end_amdhsa_kernel
	.section	.text._ZL12ssm_conv_f32ILb0ELm128ELm15EEvPKfS1_S1_iiiiPfiiil,"axG",@progbits,_ZL12ssm_conv_f32ILb0ELm128ELm15EEvPKfS1_S1_iiiiPfiiil,comdat
.Lfunc_end18:
	.size	_ZL12ssm_conv_f32ILb0ELm128ELm15EEvPKfS1_S1_iiiiPfiiil, .Lfunc_end18-_ZL12ssm_conv_f32ILb0ELm128ELm15EEvPKfS1_S1_iiiiPfiiil
                                        ; -- End function
	.set _ZL12ssm_conv_f32ILb0ELm128ELm15EEvPKfS1_S1_iiiiPfiiil.num_vgpr, 38
	.set _ZL12ssm_conv_f32ILb0ELm128ELm15EEvPKfS1_S1_iiiiPfiiil.num_agpr, 0
	.set _ZL12ssm_conv_f32ILb0ELm128ELm15EEvPKfS1_S1_iiiiPfiiil.numbered_sgpr, 93
	.set _ZL12ssm_conv_f32ILb0ELm128ELm15EEvPKfS1_S1_iiiiPfiiil.num_named_barrier, 0
	.set _ZL12ssm_conv_f32ILb0ELm128ELm15EEvPKfS1_S1_iiiiPfiiil.private_seg_size, 0
	.set _ZL12ssm_conv_f32ILb0ELm128ELm15EEvPKfS1_S1_iiiiPfiiil.uses_vcc, 1
	.set _ZL12ssm_conv_f32ILb0ELm128ELm15EEvPKfS1_S1_iiiiPfiiil.uses_flat_scratch, 0
	.set _ZL12ssm_conv_f32ILb0ELm128ELm15EEvPKfS1_S1_iiiiPfiiil.has_dyn_sized_stack, 0
	.set _ZL12ssm_conv_f32ILb0ELm128ELm15EEvPKfS1_S1_iiiiPfiiil.has_recursion, 0
	.set _ZL12ssm_conv_f32ILb0ELm128ELm15EEvPKfS1_S1_iiiiPfiiil.has_indirect_call, 0
	.section	.AMDGPU.csdata,"",@progbits
; Kernel info:
; codeLenInByte = 2800
; TotalNumSgprs: 97
; NumVgprs: 38
; ScratchSize: 0
; MemoryBound: 0
; FloatMode: 240
; IeeeMode: 1
; LDSByteSize: 0 bytes/workgroup (compile time only)
; SGPRBlocks: 12
; VGPRBlocks: 9
; NumSGPRsForWavesPerEU: 97
; NumVGPRsForWavesPerEU: 38
; Occupancy: 6
; WaveLimiterHint : 0
; COMPUTE_PGM_RSRC2:SCRATCH_EN: 0
; COMPUTE_PGM_RSRC2:USER_SGPR: 6
; COMPUTE_PGM_RSRC2:TRAP_HANDLER: 0
; COMPUTE_PGM_RSRC2:TGID_X_EN: 1
; COMPUTE_PGM_RSRC2:TGID_Y_EN: 1
; COMPUTE_PGM_RSRC2:TGID_Z_EN: 0
; COMPUTE_PGM_RSRC2:TIDIG_COMP_CNT: 0
	.section	.text._ZL23ssm_conv_long_token_f32ILb0ELm128ELm15ELl32EEvPKfS1_S1_iiiiPfiiil,"axG",@progbits,_ZL23ssm_conv_long_token_f32ILb0ELm128ELm15ELl32EEvPKfS1_S1_iiiiPfiiil,comdat
	.globl	_ZL23ssm_conv_long_token_f32ILb0ELm128ELm15ELl32EEvPKfS1_S1_iiiiPfiiil ; -- Begin function _ZL23ssm_conv_long_token_f32ILb0ELm128ELm15ELl32EEvPKfS1_S1_iiiiPfiiil
	.p2align	8
	.type	_ZL23ssm_conv_long_token_f32ILb0ELm128ELm15ELl32EEvPKfS1_S1_iiiiPfiiil,@function
_ZL23ssm_conv_long_token_f32ILb0ELm128ELm15ELl32EEvPKfS1_S1_iiiiPfiiil: ; @_ZL23ssm_conv_long_token_f32ILb0ELm128ELm15ELl32EEvPKfS1_S1_iiiiPfiiil
; %bb.0:
	s_load_dwordx2 s[12:13], s[4:5], 0x0
	s_load_dwordx4 s[0:3], s[4:5], 0x18
	s_mov_b32 s10, s7
	v_mul_u32_u24_e32 v1, 0x591, v0
	v_lshrrev_b32_e32 v4, 16, v1
	v_mul_lo_u16_e32 v1, 46, v4
	s_waitcnt lgkmcnt(0)
	s_mul_i32 s2, s2, s6
	s_ashr_i32 s7, s2, 31
	s_add_u32 s2, s12, s2
	s_addc_u32 s7, s13, s7
	s_ashr_i32 s11, s10, 31
	s_lshl_b64 s[12:13], s[10:11], 7
	s_ashr_i32 s9, s1, 31
	s_mul_i32 s9, s12, s9
	s_mul_hi_u32 s14, s12, s1
	s_lshr_b64 s[10:11], s[10:11], 25
	s_add_i32 s9, s14, s9
	s_mul_i32 s10, s10, s1
	s_add_i32 s9, s9, s10
	s_mul_i32 s10, s12, s1
	s_add_u32 s2, s2, s10
	s_addc_u32 s7, s7, s9
	s_ashr_i32 s9, s8, 31
	s_lshl_b64 s[14:15], s[8:9], 5
	s_ashr_i32 s10, s0, 31
	s_mul_i32 s10, s14, s10
	s_mul_hi_u32 s11, s14, s0
	s_lshr_b64 s[8:9], s[8:9], 27
	s_add_i32 s10, s11, s10
	s_mul_i32 s8, s8, s0
	s_add_i32 s10, s10, s8
	s_mul_i32 s0, s14, s0
	s_add_u32 s2, s2, s0
	s_addc_u32 s7, s7, s10
	s_ashr_i32 s20, s1, 2
	v_sub_u16_e32 v1, v0, v1
	v_mad_u64_u32 v[2:3], s[0:1], s20, v4, v[1:2]
	v_mov_b32_e32 v5, s7
	v_mov_b32_e32 v6, s7
	v_ashrrev_i32_e32 v3, 31, v2
	v_lshlrev_b64 v[2:3], 2, v[2:3]
	s_movk_i32 s8, 0xb8
	v_add_co_u32_e32 v2, vcc, s2, v2
	v_addc_co_u32_e32 v3, vcc, v5, v3, vcc
	global_load_dword v2, v[2:3], off
	v_mul_u32_u24_e32 v3, 0xb8, v4
	v_lshlrev_b32_e32 v5, 2, v1
	v_add3_u32 v3, 0, v3, v5
	v_or_b32_e32 v1, 0xffffff80, v1
	s_movk_i32 s9, 0x80
	s_waitcnt vmcnt(0)
	ds_write_b32 v3, v2
	v_lshrrev_b16_e32 v2, 1, v1
	v_and_b32_e32 v2, 0x7f, v2
	v_mul_lo_u16_e32 v2, 0xb3, v2
	v_lshrrev_b16_e32 v2, 12, v2
	v_add_u32_e32 v4, v4, v2
	v_mul_lo_u16_e32 v2, 46, v2
	v_sub_u16_e32 v5, v1, v2
	v_and_b32_e32 v1, 0xff, v5
	v_mad_u64_u32 v[2:3], s[0:1], v4, s20, v[1:2]
	v_lshlrev_b32_e32 v1, 2, v1
	v_ashrrev_i32_e32 v3, 31, v2
	v_lshlrev_b64 v[2:3], 2, v[2:3]
	v_add_co_u32_e32 v2, vcc, s2, v2
	v_addc_co_u32_e32 v3, vcc, v6, v3, vcc
	global_load_dword v2, v[2:3], off
	v_mul_u32_u24_e32 v3, 0xb8, v4
	v_add3_u32 v1, 0, v3, v1
	s_waitcnt vmcnt(0)
	ds_write_b32 v1, v2
	v_or_b32_e32 v1, 0xffffff80, v5
	v_lshrrev_b16_e32 v2, 1, v1
	v_and_b32_e32 v2, 0x7f, v2
	v_mul_lo_u16_e32 v2, 0xb3, v2
	v_lshrrev_b16_e32 v2, 12, v2
	v_add_u32_e32 v4, v4, v2
	v_mul_lo_u16_e32 v2, 46, v2
	v_sub_u16_e32 v5, v1, v2
	v_and_b32_e32 v1, 0xff, v5
	v_mad_u64_u32 v[2:3], s[0:1], v4, s20, v[1:2]
	v_lshlrev_b32_e32 v1, 2, v1
	v_ashrrev_i32_e32 v3, 31, v2
	v_lshlrev_b64 v[2:3], 2, v[2:3]
	v_add_co_u32_e32 v2, vcc, s2, v2
	v_addc_co_u32_e32 v3, vcc, v6, v3, vcc
	global_load_dword v2, v[2:3], off
	v_mul_u32_u24_e32 v3, 0xb8, v4
	v_add3_u32 v1, 0, v3, v1
	s_waitcnt vmcnt(0)
	ds_write_b32 v1, v2
	v_or_b32_e32 v1, 0xffffff80, v5
	;; [unrolled: 20-line block ×5, first 2 shown]
	v_lshrrev_b16_e32 v2, 1, v1
	v_and_b32_e32 v2, 0x7f, v2
	v_mul_lo_u16_e32 v2, 0xb3, v2
	v_lshrrev_b16_e32 v2, 12, v2
	v_add_u32_e32 v4, v4, v2
	v_mul_lo_u16_e32 v2, 46, v2
	v_sub_u16_e32 v5, v1, v2
	v_and_b32_e32 v1, 0xff, v5
	v_mad_u64_u32 v[2:3], s[0:1], v4, s20, v[1:2]
	v_lshlrev_b32_e32 v1, 2, v1
	v_ashrrev_i32_e32 v3, 31, v2
	v_lshlrev_b64 v[2:3], 2, v[2:3]
	v_add_co_u32_e32 v2, vcc, s2, v2
	v_addc_co_u32_e32 v3, vcc, v6, v3, vcc
	global_load_dword v2, v[2:3], off
	v_mul_lo_u32 v3, v4, s8
	v_add3_u32 v1, 0, v3, v1
	s_waitcnt vmcnt(0)
	ds_write_b32 v1, v2
	v_or_b32_e32 v1, 0xffffff80, v5
	v_lshrrev_b16_e32 v2, 1, v1
	v_and_b32_e32 v2, 0x7f, v2
	v_mul_lo_u16_e32 v2, 0xb3, v2
	v_lshrrev_b16_e32 v2, 12, v2
	v_add_u32_e32 v4, v4, v2
	v_mul_lo_u16_e32 v2, 46, v2
	v_sub_u16_e32 v5, v1, v2
	v_and_b32_e32 v1, 0xff, v5
	v_mad_u64_u32 v[2:3], s[0:1], v4, s20, v[1:2]
	v_lshlrev_b32_e32 v1, 2, v1
	v_ashrrev_i32_e32 v3, 31, v2
	v_lshlrev_b64 v[2:3], 2, v[2:3]
	v_add_co_u32_e32 v2, vcc, s2, v2
	v_addc_co_u32_e32 v3, vcc, v6, v3, vcc
	global_load_dword v2, v[2:3], off
	v_mul_lo_u32 v3, v4, s8
	v_add3_u32 v1, 0, v3, v1
	s_waitcnt vmcnt(0)
	ds_write_b32 v1, v2
	v_or_b32_e32 v1, 0xffffff80, v5
	;; [unrolled: 20-line block ×21, first 2 shown]
	v_lshrrev_b16_e32 v2, 1, v1
	v_and_b32_e32 v2, 0x7f, v2
	v_mul_lo_u16_e32 v2, 0xb3, v2
	v_lshrrev_b16_e32 v3, 12, v2
	v_add_u32_e32 v2, v4, v3
	v_mul_lo_u16_e32 v3, 46, v3
	v_sub_u16_e32 v1, v1, v3
	v_and_b32_e32 v1, 0xff, v1
	v_cmp_gt_u32_e32 vcc, s9, v2
	s_and_saveexec_b64 s[0:1], vcc
	s_cbranch_execz .LBB19_2
; %bb.1:
	v_mad_u64_u32 v[3:4], s[10:11], v2, s20, v[1:2]
	v_mov_b32_e32 v5, s7
	v_ashrrev_i32_e32 v4, 31, v3
	v_lshlrev_b64 v[3:4], 2, v[3:4]
	v_add_co_u32_e32 v3, vcc, s2, v3
	v_addc_co_u32_e32 v4, vcc, v5, v4, vcc
	global_load_dword v3, v[3:4], off
	v_mul_lo_u32 v4, v2, s8
	v_lshlrev_b32_e32 v5, 2, v1
	v_add3_u32 v4, 0, v4, v5
	s_waitcnt vmcnt(0)
	ds_write_b32 v4, v3
.LBB19_2:
	s_or_b64 exec, exec, s[0:1]
	v_or_b32_e32 v1, 0xffffff80, v1
	v_lshrrev_b16_e32 v3, 1, v1
	v_and_b32_e32 v3, 0x7f, v3
	v_mul_lo_u16_e32 v3, 0xb3, v3
	v_lshrrev_b16_e32 v3, 12, v3
	v_add_u32_e32 v2, v2, v3
	v_mul_lo_u16_e32 v3, 46, v3
	v_sub_u16_e32 v1, v1, v3
	v_and_b32_e32 v1, 0xff, v1
	v_cmp_gt_u32_e32 vcc, s9, v2
	s_and_saveexec_b64 s[0:1], vcc
	s_cbranch_execz .LBB19_4
; %bb.3:
	v_mad_u64_u32 v[3:4], s[8:9], v2, s20, v[1:2]
	v_mov_b32_e32 v5, s7
	s_movk_i32 s8, 0xb8
	v_ashrrev_i32_e32 v4, 31, v3
	v_lshlrev_b64 v[3:4], 2, v[3:4]
	v_add_co_u32_e32 v3, vcc, s2, v3
	v_addc_co_u32_e32 v4, vcc, v5, v4, vcc
	global_load_dword v3, v[3:4], off
	v_mul_lo_u32 v4, v2, s8
	v_lshlrev_b32_e32 v5, 2, v1
	v_add3_u32 v4, 0, v4, v5
	s_waitcnt vmcnt(0)
	ds_write_b32 v4, v3
.LBB19_4:
	s_or_b64 exec, exec, s[0:1]
	v_or_b32_e32 v1, 0xffffff80, v1
	v_lshrrev_b16_e32 v3, 1, v1
	v_and_b32_e32 v3, 0x7f, v3
	v_mul_lo_u16_e32 v3, 0xb3, v3
	v_lshrrev_b16_e32 v3, 12, v3
	v_add_u32_e32 v2, v2, v3
	v_mul_lo_u16_e32 v3, 46, v3
	v_sub_u16_e32 v1, v1, v3
	s_movk_i32 s8, 0x80
	v_and_b32_e32 v1, 0xff, v1
	v_cmp_gt_u32_e32 vcc, s8, v2
	s_and_saveexec_b64 s[0:1], vcc
	s_cbranch_execz .LBB19_6
; %bb.5:
	v_mad_u64_u32 v[3:4], s[10:11], v2, s20, v[1:2]
	v_mov_b32_e32 v5, s7
	s_movk_i32 s9, 0xb8
	v_ashrrev_i32_e32 v4, 31, v3
	v_lshlrev_b64 v[3:4], 2, v[3:4]
	v_add_co_u32_e32 v3, vcc, s2, v3
	v_addc_co_u32_e32 v4, vcc, v5, v4, vcc
	global_load_dword v3, v[3:4], off
	v_mul_lo_u32 v4, v2, s9
	v_lshlrev_b32_e32 v5, 2, v1
	v_add3_u32 v4, 0, v4, v5
	s_waitcnt vmcnt(0)
	ds_write_b32 v4, v3
.LBB19_6:
	s_or_b64 exec, exec, s[0:1]
	v_or_b32_e32 v1, 0xffffff80, v1
	v_lshrrev_b16_e32 v3, 1, v1
	v_and_b32_e32 v3, 0x7f, v3
	v_mul_lo_u16_e32 v3, 0xb3, v3
	v_lshrrev_b16_e32 v3, 12, v3
	v_add_u32_e32 v2, v2, v3
	v_mul_lo_u16_e32 v3, 46, v3
	v_sub_u16_e32 v1, v1, v3
	v_and_b32_e32 v1, 0xff, v1
	v_cmp_gt_u32_e32 vcc, s8, v2
	s_and_saveexec_b64 s[0:1], vcc
	s_cbranch_execz .LBB19_8
; %bb.7:
	v_mad_u64_u32 v[3:4], s[8:9], v2, s20, v[1:2]
	v_mov_b32_e32 v5, s7
	s_movk_i32 s8, 0xb8
	v_ashrrev_i32_e32 v4, 31, v3
	v_lshlrev_b64 v[3:4], 2, v[3:4]
	v_add_co_u32_e32 v3, vcc, s2, v3
	v_addc_co_u32_e32 v4, vcc, v5, v4, vcc
	global_load_dword v3, v[3:4], off
	v_mul_lo_u32 v4, v2, s8
	v_lshlrev_b32_e32 v5, 2, v1
	v_add3_u32 v4, 0, v4, v5
	s_waitcnt vmcnt(0)
	ds_write_b32 v4, v3
.LBB19_8:
	s_or_b64 exec, exec, s[0:1]
	v_or_b32_e32 v1, 0xffffff80, v1
	v_lshrrev_b16_e32 v3, 1, v1
	v_and_b32_e32 v3, 0x7f, v3
	v_mul_lo_u16_e32 v3, 0xb3, v3
	v_lshrrev_b16_e32 v3, 12, v3
	v_add_u32_e32 v2, v2, v3
	v_mul_lo_u16_e32 v3, 46, v3
	v_sub_u16_e32 v1, v1, v3
	s_movk_i32 s8, 0x80
	v_and_b32_e32 v1, 0xff, v1
	v_cmp_gt_u32_e32 vcc, s8, v2
	s_and_saveexec_b64 s[0:1], vcc
	s_cbranch_execz .LBB19_10
; %bb.9:
	v_mad_u64_u32 v[3:4], s[10:11], v2, s20, v[1:2]
	v_mov_b32_e32 v5, s7
	s_movk_i32 s9, 0xb8
	v_ashrrev_i32_e32 v4, 31, v3
	v_lshlrev_b64 v[3:4], 2, v[3:4]
	v_add_co_u32_e32 v3, vcc, s2, v3
	v_addc_co_u32_e32 v4, vcc, v5, v4, vcc
	global_load_dword v3, v[3:4], off
	v_mul_lo_u32 v4, v2, s9
	v_lshlrev_b32_e32 v5, 2, v1
	v_add3_u32 v4, 0, v4, v5
	s_waitcnt vmcnt(0)
	ds_write_b32 v4, v3
.LBB19_10:
	s_or_b64 exec, exec, s[0:1]
	v_or_b32_e32 v1, 0xffffff80, v1
	v_lshrrev_b16_e32 v3, 1, v1
	v_and_b32_e32 v3, 0x7f, v3
	v_mul_lo_u16_e32 v3, 0xb3, v3
	v_lshrrev_b16_e32 v3, 12, v3
	v_add_u32_e32 v2, v2, v3
	v_mul_lo_u16_e32 v3, 46, v3
	v_sub_u16_e32 v1, v1, v3
	v_and_b32_e32 v1, 0xff, v1
	v_cmp_gt_u32_e32 vcc, s8, v2
	s_and_saveexec_b64 s[0:1], vcc
	s_cbranch_execz .LBB19_12
; %bb.11:
	v_mad_u64_u32 v[3:4], s[8:9], v2, s20, v[1:2]
	v_mov_b32_e32 v5, s7
	s_movk_i32 s8, 0xb8
	v_ashrrev_i32_e32 v4, 31, v3
	v_lshlrev_b64 v[3:4], 2, v[3:4]
	v_add_co_u32_e32 v3, vcc, s2, v3
	v_addc_co_u32_e32 v4, vcc, v5, v4, vcc
	global_load_dword v3, v[3:4], off
	v_mul_lo_u32 v4, v2, s8
	v_lshlrev_b32_e32 v5, 2, v1
	v_add3_u32 v4, 0, v4, v5
	s_waitcnt vmcnt(0)
	ds_write_b32 v4, v3
.LBB19_12:
	s_or_b64 exec, exec, s[0:1]
	v_or_b32_e32 v1, 0xffffff80, v1
	v_lshrrev_b16_e32 v3, 1, v1
	v_and_b32_e32 v3, 0x7f, v3
	v_mul_lo_u16_e32 v3, 0xb3, v3
	v_lshrrev_b16_e32 v3, 12, v3
	v_add_u32_e32 v2, v2, v3
	v_mul_lo_u16_e32 v3, 46, v3
	v_sub_u16_e32 v1, v1, v3
	s_movk_i32 s8, 0x80
	v_and_b32_e32 v1, 0xff, v1
	v_cmp_gt_u32_e32 vcc, s8, v2
	s_and_saveexec_b64 s[0:1], vcc
	s_cbranch_execz .LBB19_14
; %bb.13:
	v_mad_u64_u32 v[3:4], s[10:11], v2, s20, v[1:2]
	v_mov_b32_e32 v5, s7
	s_movk_i32 s9, 0xb8
	v_ashrrev_i32_e32 v4, 31, v3
	v_lshlrev_b64 v[3:4], 2, v[3:4]
	v_add_co_u32_e32 v3, vcc, s2, v3
	v_addc_co_u32_e32 v4, vcc, v5, v4, vcc
	global_load_dword v3, v[3:4], off
	v_mul_lo_u32 v4, v2, s9
	v_lshlrev_b32_e32 v5, 2, v1
	v_add3_u32 v4, 0, v4, v5
	s_waitcnt vmcnt(0)
	ds_write_b32 v4, v3
.LBB19_14:
	s_or_b64 exec, exec, s[0:1]
	v_or_b32_e32 v1, 0xffffff80, v1
	v_lshrrev_b16_e32 v3, 1, v1
	v_and_b32_e32 v3, 0x7f, v3
	v_mul_lo_u16_e32 v3, 0xb3, v3
	v_lshrrev_b16_e32 v3, 12, v3
	v_add_u32_e32 v2, v2, v3
	v_mul_lo_u16_e32 v3, 46, v3
	v_sub_u16_e32 v1, v1, v3
	v_and_b32_e32 v1, 0xff, v1
	v_cmp_gt_u32_e32 vcc, s8, v2
	s_and_saveexec_b64 s[0:1], vcc
	s_cbranch_execz .LBB19_16
; %bb.15:
	v_mad_u64_u32 v[3:4], s[8:9], v2, s20, v[1:2]
	v_mov_b32_e32 v5, s7
	s_movk_i32 s8, 0xb8
	v_ashrrev_i32_e32 v4, 31, v3
	v_lshlrev_b64 v[3:4], 2, v[3:4]
	v_add_co_u32_e32 v3, vcc, s2, v3
	v_addc_co_u32_e32 v4, vcc, v5, v4, vcc
	global_load_dword v3, v[3:4], off
	v_mul_lo_u32 v4, v2, s8
	v_lshlrev_b32_e32 v5, 2, v1
	v_add3_u32 v4, 0, v4, v5
	s_waitcnt vmcnt(0)
	ds_write_b32 v4, v3
.LBB19_16:
	s_or_b64 exec, exec, s[0:1]
	v_or_b32_e32 v1, 0xffffff80, v1
	v_lshrrev_b16_e32 v3, 1, v1
	v_and_b32_e32 v3, 0x7f, v3
	v_mul_lo_u16_e32 v3, 0xb3, v3
	v_lshrrev_b16_e32 v3, 12, v3
	v_add_u32_e32 v2, v2, v3
	v_mul_lo_u16_e32 v3, 46, v3
	v_sub_u16_e32 v1, v1, v3
	s_movk_i32 s8, 0x80
	v_and_b32_e32 v1, 0xff, v1
	v_cmp_gt_u32_e32 vcc, s8, v2
	s_and_saveexec_b64 s[0:1], vcc
	s_cbranch_execz .LBB19_18
; %bb.17:
	v_mad_u64_u32 v[3:4], s[10:11], v2, s20, v[1:2]
	v_mov_b32_e32 v5, s7
	s_movk_i32 s9, 0xb8
	v_ashrrev_i32_e32 v4, 31, v3
	v_lshlrev_b64 v[3:4], 2, v[3:4]
	v_add_co_u32_e32 v3, vcc, s2, v3
	v_addc_co_u32_e32 v4, vcc, v5, v4, vcc
	global_load_dword v3, v[3:4], off
	v_mul_lo_u32 v4, v2, s9
	v_lshlrev_b32_e32 v5, 2, v1
	v_add3_u32 v4, 0, v4, v5
	s_waitcnt vmcnt(0)
	ds_write_b32 v4, v3
.LBB19_18:
	s_or_b64 exec, exec, s[0:1]
	v_or_b32_e32 v1, 0xffffff80, v1
	v_lshrrev_b16_e32 v3, 1, v1
	v_and_b32_e32 v3, 0x7f, v3
	v_mul_lo_u16_e32 v3, 0xb3, v3
	v_lshrrev_b16_e32 v3, 12, v3
	v_add_u32_e32 v2, v2, v3
	v_mul_lo_u16_e32 v3, 46, v3
	v_sub_u16_e32 v1, v1, v3
	v_and_b32_e32 v1, 0xff, v1
	v_cmp_gt_u32_e32 vcc, s8, v2
	s_and_saveexec_b64 s[0:1], vcc
	s_cbranch_execz .LBB19_20
; %bb.19:
	v_mad_u64_u32 v[3:4], s[8:9], v2, s20, v[1:2]
	v_mov_b32_e32 v5, s7
	s_movk_i32 s8, 0xb8
	v_ashrrev_i32_e32 v4, 31, v3
	v_lshlrev_b64 v[3:4], 2, v[3:4]
	v_add_co_u32_e32 v3, vcc, s2, v3
	v_addc_co_u32_e32 v4, vcc, v5, v4, vcc
	global_load_dword v3, v[3:4], off
	v_mul_lo_u32 v4, v2, s8
	v_lshlrev_b32_e32 v5, 2, v1
	v_add3_u32 v4, 0, v4, v5
	s_waitcnt vmcnt(0)
	ds_write_b32 v4, v3
.LBB19_20:
	s_or_b64 exec, exec, s[0:1]
	v_or_b32_e32 v1, 0xffffff80, v1
	v_lshrrev_b16_e32 v3, 1, v1
	v_and_b32_e32 v3, 0x7f, v3
	v_mul_lo_u16_e32 v3, 0xb3, v3
	v_lshrrev_b16_e32 v3, 12, v3
	v_add_u32_e32 v2, v2, v3
	v_mul_lo_u16_e32 v3, 46, v3
	v_sub_u16_e32 v1, v1, v3
	s_movk_i32 s8, 0x80
	v_and_b32_e32 v1, 0xff, v1
	v_cmp_gt_u32_e32 vcc, s8, v2
	s_and_saveexec_b64 s[0:1], vcc
	s_cbranch_execz .LBB19_22
; %bb.21:
	v_mad_u64_u32 v[3:4], s[10:11], v2, s20, v[1:2]
	v_mov_b32_e32 v5, s7
	s_movk_i32 s9, 0xb8
	v_ashrrev_i32_e32 v4, 31, v3
	v_lshlrev_b64 v[3:4], 2, v[3:4]
	v_add_co_u32_e32 v3, vcc, s2, v3
	v_addc_co_u32_e32 v4, vcc, v5, v4, vcc
	global_load_dword v3, v[3:4], off
	v_mul_lo_u32 v4, v2, s9
	v_lshlrev_b32_e32 v5, 2, v1
	v_add3_u32 v4, 0, v4, v5
	s_waitcnt vmcnt(0)
	ds_write_b32 v4, v3
.LBB19_22:
	s_or_b64 exec, exec, s[0:1]
	v_or_b32_e32 v1, 0xffffff80, v1
	v_lshrrev_b16_e32 v3, 1, v1
	v_and_b32_e32 v3, 0x7f, v3
	v_mul_lo_u16_e32 v3, 0xb3, v3
	v_lshrrev_b16_e32 v3, 12, v3
	v_add_u32_e32 v2, v2, v3
	v_mul_lo_u16_e32 v3, 46, v3
	v_sub_u16_e32 v1, v1, v3
	v_and_b32_e32 v1, 0xff, v1
	v_cmp_gt_u32_e32 vcc, s8, v2
	s_and_saveexec_b64 s[0:1], vcc
	s_cbranch_execz .LBB19_24
; %bb.23:
	v_mad_u64_u32 v[3:4], s[8:9], v2, s20, v[1:2]
	v_mov_b32_e32 v5, s7
	s_movk_i32 s8, 0xb8
	v_ashrrev_i32_e32 v4, 31, v3
	v_lshlrev_b64 v[3:4], 2, v[3:4]
	v_add_co_u32_e32 v3, vcc, s2, v3
	v_addc_co_u32_e32 v4, vcc, v5, v4, vcc
	global_load_dword v3, v[3:4], off
	v_mul_lo_u32 v4, v2, s8
	v_lshlrev_b32_e32 v5, 2, v1
	v_add3_u32 v4, 0, v4, v5
	s_waitcnt vmcnt(0)
	ds_write_b32 v4, v3
.LBB19_24:
	s_or_b64 exec, exec, s[0:1]
	s_load_dwordx4 s[8:11], s[4:5], 0x8
	s_load_dwordx2 s[0:1], s[4:5], 0x28
	s_movk_i32 s16, 0x380
	v_cmp_gt_u32_e32 vcc, s16, v0
	s_and_saveexec_b64 s[16:17], vcc
	s_cbranch_execz .LBB19_45
; %bb.25:
	v_or_b32_e32 v1, 0xffffff80, v1
	v_lshrrev_b16_e32 v3, 1, v1
	v_and_b32_e32 v3, 0x7f, v3
	v_mul_lo_u16_e32 v3, 0xb3, v3
	v_lshrrev_b16_e32 v3, 12, v3
	v_add_u32_e32 v2, v2, v3
	v_mul_lo_u16_e32 v3, 46, v3
	v_sub_u16_e32 v1, v1, v3
	s_movk_i32 s18, 0x80
	v_and_b32_e32 v1, 0xff, v1
	v_cmp_gt_u32_e32 vcc, s18, v2
	s_and_saveexec_b64 s[18:19], vcc
	s_cbranch_execz .LBB19_27
; %bb.26:
	v_mad_u64_u32 v[3:4], s[22:23], v2, s20, v[1:2]
	v_mov_b32_e32 v5, s7
	s_movk_i32 s21, 0xb8
	v_ashrrev_i32_e32 v4, 31, v3
	v_lshlrev_b64 v[3:4], 2, v[3:4]
	v_add_co_u32_e32 v3, vcc, s2, v3
	v_addc_co_u32_e32 v4, vcc, v5, v4, vcc
	global_load_dword v3, v[3:4], off
	v_mul_lo_u32 v4, v2, s21
	v_lshlrev_b32_e32 v5, 2, v1
	v_add3_u32 v4, 0, v4, v5
	s_waitcnt vmcnt(0)
	ds_write_b32 v4, v3
.LBB19_27:
	s_or_b64 exec, exec, s[18:19]
	s_movk_i32 s18, 0x300
	v_cmp_gt_u32_e32 vcc, s18, v0
	s_and_b64 exec, exec, vcc
	s_cbranch_execz .LBB19_45
; %bb.28:
	v_or_b32_e32 v1, 0xffffff80, v1
	v_lshrrev_b16_e32 v3, 1, v1
	v_and_b32_e32 v3, 0x7f, v3
	v_mul_lo_u16_e32 v3, 0xb3, v3
	v_lshrrev_b16_e32 v3, 12, v3
	v_add_u32_e32 v2, v2, v3
	v_mul_lo_u16_e32 v3, 46, v3
	v_sub_u16_e32 v1, v1, v3
	s_movk_i32 s18, 0x80
	v_and_b32_e32 v1, 0xff, v1
	v_cmp_gt_u32_e32 vcc, s18, v2
	s_and_saveexec_b64 s[18:19], vcc
	s_cbranch_execz .LBB19_30
; %bb.29:
	v_mad_u64_u32 v[3:4], s[22:23], v2, s20, v[1:2]
	v_mov_b32_e32 v5, s7
	s_movk_i32 s21, 0xb8
	v_ashrrev_i32_e32 v4, 31, v3
	v_lshlrev_b64 v[3:4], 2, v[3:4]
	v_add_co_u32_e32 v3, vcc, s2, v3
	v_addc_co_u32_e32 v4, vcc, v5, v4, vcc
	global_load_dword v3, v[3:4], off
	v_mul_lo_u32 v4, v2, s21
	v_lshlrev_b32_e32 v5, 2, v1
	v_add3_u32 v4, 0, v4, v5
	s_waitcnt vmcnt(0)
	ds_write_b32 v4, v3
.LBB19_30:
	s_or_b64 exec, exec, s[18:19]
	s_movk_i32 s18, 0x280
	v_cmp_gt_u32_e32 vcc, s18, v0
	s_and_b64 exec, exec, vcc
	;; [unrolled: 34-line block ×5, first 2 shown]
	s_cbranch_execz .LBB19_45
; %bb.40:
	v_or_b32_e32 v1, 0xffffff80, v1
	v_lshrrev_b16_e32 v3, 1, v1
	v_and_b32_e32 v3, 0x7f, v3
	v_mul_lo_u16_e32 v3, 0xb3, v3
	v_lshrrev_b16_e32 v3, 12, v3
	v_add_u32_e32 v2, v2, v3
	v_mul_lo_u16_e32 v3, 46, v3
	v_sub_u16_e32 v1, v1, v3
	s_movk_i32 s21, 0x80
	v_and_b32_e32 v1, 0xff, v1
	v_cmp_gt_u32_e32 vcc, s21, v2
	s_and_saveexec_b64 s[18:19], vcc
	s_cbranch_execz .LBB19_42
; %bb.41:
	v_mad_u64_u32 v[3:4], s[22:23], v2, s20, v[1:2]
	v_mov_b32_e32 v5, s7
	s_movk_i32 s22, 0xb8
	v_ashrrev_i32_e32 v4, 31, v3
	v_lshlrev_b64 v[3:4], 2, v[3:4]
	v_add_co_u32_e32 v3, vcc, s2, v3
	v_addc_co_u32_e32 v4, vcc, v5, v4, vcc
	global_load_dword v3, v[3:4], off
	v_mul_lo_u32 v4, v2, s22
	v_lshlrev_b32_e32 v5, 2, v1
	v_add3_u32 v4, 0, v4, v5
	s_waitcnt vmcnt(0)
	ds_write_b32 v4, v3
.LBB19_42:
	s_or_b64 exec, exec, s[18:19]
	v_cmp_gt_u32_e32 vcc, s21, v0
	s_and_b64 exec, exec, vcc
	s_cbranch_execz .LBB19_45
; %bb.43:
	v_or_b32_e32 v3, 0x80, v1
	v_lshrrev_b16_e32 v1, 1, v3
	v_mul_lo_u16_e32 v1, 0xb3, v1
	v_lshrrev_b16_e32 v4, 12, v1
	s_movk_i32 s18, 0x80
	v_add_u32_e32 v1, v2, v4
	v_cmp_gt_u32_e32 vcc, s18, v1
	s_and_b64 exec, exec, vcc
	s_cbranch_execz .LBB19_45
; %bb.44:
	v_mul_lo_u16_e32 v2, 46, v4
	v_sub_u16_e32 v2, v3, v2
	v_and_b32_e32 v2, 0xff, v2
	v_mad_u64_u32 v[3:4], s[18:19], v1, s20, v[2:3]
	v_mov_b32_e32 v5, s7
	v_lshlrev_b32_e32 v2, 2, v2
	v_ashrrev_i32_e32 v4, 31, v3
	v_lshlrev_b64 v[3:4], 2, v[3:4]
	v_add_co_u32_e32 v3, vcc, s2, v3
	v_addc_co_u32_e32 v4, vcc, v5, v4, vcc
	global_load_dword v3, v[3:4], off
	s_movk_i32 s2, 0xb8
	v_mul_lo_u32 v1, v1, s2
	v_add3_u32 v1, 0, v1, v2
	s_waitcnt vmcnt(0)
	ds_write_b32 v1, v3
.LBB19_45:
	s_or_b64 exec, exec, s[16:17]
	s_ashr_i32 s2, s3, 31
	s_mul_hi_u32 s7, s12, s3
	s_mul_i32 s2, s12, s2
	s_add_i32 s2, s7, s2
	s_mul_i32 s7, s13, s3
	s_add_i32 s2, s2, s7
	s_mul_i32 s7, s12, s3
	s_waitcnt lgkmcnt(0)
	s_add_u32 s7, s8, s7
	s_addc_u32 s2, s9, s2
	s_ashr_i32 s3, s3, 2
	v_mul_lo_u32 v1, s3, v0
	v_mov_b32_e32 v3, s2
	s_barrier
	v_ashrrev_i32_e32 v2, 31, v1
	v_lshlrev_b64 v[1:2], 2, v[1:2]
	v_add_co_u32_e32 v16, vcc, s7, v1
	v_addc_co_u32_e32 v17, vcc, v3, v2, vcc
	global_load_dwordx3 v[13:15], v[16:17], off offset:48
	global_load_dwordx4 v[1:4], v[16:17], off offset:32
	global_load_dwordx4 v[5:8], v[16:17], off offset:16
	global_load_dwordx4 v[9:12], v[16:17], off
	s_cmp_eq_u64 s[10:11], 0
	v_lshlrev_b32_e32 v16, 2, v0
	s_cbranch_scc1 .LBB19_47
; %bb.46:
	s_lshl_b64 s[2:3], s[12:13], 2
	s_add_u32 s2, s10, s2
	s_addc_u32 s3, s11, s3
	global_load_dword v20, v16, s[2:3]
	s_branch .LBB19_48
.LBB19_47:
	v_mov_b32_e32 v20, 0
.LBB19_48:
	s_load_dwordx2 s[2:3], s[4:5], 0x40
	s_waitcnt lgkmcnt(0)
	s_sub_u32 s2, s2, s14
	s_subb_u32 s3, s3, s15
	v_cmp_lt_i64_e64 s[8:9], s[2:3], 1
	s_and_b64 vcc, exec, s[8:9]
	s_cbranch_vccnz .LBB19_51
; %bb.49:
	s_load_dwordx4 s[8:11], s[4:5], 0x30
	s_waitcnt lgkmcnt(0)
	s_ashr_i32 s4, s9, 31
	s_mul_hi_u32 s5, s14, s9
	s_mul_i32 s4, s14, s4
	s_mul_i32 s10, s10, s6
	;; [unrolled: 1-line block ×3, first 2 shown]
	s_add_i32 s4, s5, s4
	s_add_i32 s15, s4, s6
	s_ashr_i32 s4, s8, 31
	s_mul_hi_u32 s5, s12, s8
	s_mul_i32 s4, s12, s4
	s_add_i32 s4, s5, s4
	s_mul_i32 s5, s13, s8
	s_add_i32 s13, s4, s5
	s_ashr_i32 s4, s9, 2
	s_movk_i32 s5, 0xb8
	v_cmp_lt_u64_e64 s[6:7], s[2:3], 32
	s_ashr_i32 s11, s10, 31
	v_mad_u32_u24 v0, v0, s5, 0
	s_ashr_i32 s5, s4, 31
	s_mul_i32 s14, s14, s9
	s_mul_i32 s8, s12, s8
	s_and_b64 s[6:7], s[6:7], exec
	s_cselect_b32 s3, s3, 0
	s_cselect_b32 s2, s2, 32
	s_add_u32 s6, s8, s14
	s_addc_u32 s7, s13, s15
	s_add_u32 s0, s0, s10
	s_addc_u32 s1, s1, s11
	ds_read_b32 v18, v0
	s_add_u32 s0, s0, s6
	s_addc_u32 s1, s1, s7
	v_mov_b32_e32 v17, s1
	v_add_co_u32_e32 v16, vcc, s0, v16
	s_lshl_b64 s[0:1], s[4:5], 2
	v_addc_co_u32_e32 v17, vcc, 0, v17, vcc
	v_mov_b32_e32 v21, s1
	s_waitcnt vmcnt(0)
.LBB19_50:                              ; =>This Inner Loop Header: Depth=1
	s_waitcnt lgkmcnt(0)
	v_fma_f32 v24, v9, v18, 0
	ds_read2_b32 v[18:19], v0 offset0:1 offset1:2
	ds_read2_b32 v[22:23], v0 offset0:3 offset1:4
	s_add_u32 s2, s2, -1
	s_addc_u32 s3, s3, -1
	s_cmp_lg_u64 s[2:3], 0
	s_waitcnt lgkmcnt(1)
	v_fmac_f32_e32 v24, v10, v18
	v_fmac_f32_e32 v24, v11, v19
	s_waitcnt lgkmcnt(0)
	v_fmac_f32_e32 v24, v12, v22
	v_fmac_f32_e32 v24, v5, v23
	ds_read2_b32 v[22:23], v0 offset0:5 offset1:6
	s_waitcnt lgkmcnt(0)
	v_fmac_f32_e32 v24, v6, v22
	v_fmac_f32_e32 v24, v7, v23
	ds_read2_b32 v[22:23], v0 offset0:7 offset1:8
	;; [unrolled: 4-line block ×5, first 2 shown]
	v_add_u32_e32 v0, 4, v0
	s_waitcnt lgkmcnt(0)
	v_fmac_f32_e32 v24, v14, v22
	v_fmac_f32_e32 v24, v15, v23
	v_add_f32_e32 v19, v20, v24
	global_store_dword v[16:17], v19, off
	v_add_co_u32_e32 v16, vcc, s0, v16
	v_addc_co_u32_e32 v17, vcc, v17, v21, vcc
	s_cbranch_scc1 .LBB19_50
.LBB19_51:
	s_endpgm
	.section	.rodata,"a",@progbits
	.p2align	6, 0x0
	.amdhsa_kernel _ZL23ssm_conv_long_token_f32ILb0ELm128ELm15ELl32EEvPKfS1_S1_iiiiPfiiil
		.amdhsa_group_segment_fixed_size 0
		.amdhsa_private_segment_fixed_size 0
		.amdhsa_kernarg_size 72
		.amdhsa_user_sgpr_count 6
		.amdhsa_user_sgpr_private_segment_buffer 1
		.amdhsa_user_sgpr_dispatch_ptr 0
		.amdhsa_user_sgpr_queue_ptr 0
		.amdhsa_user_sgpr_kernarg_segment_ptr 1
		.amdhsa_user_sgpr_dispatch_id 0
		.amdhsa_user_sgpr_flat_scratch_init 0
		.amdhsa_user_sgpr_private_segment_size 0
		.amdhsa_uses_dynamic_stack 0
		.amdhsa_system_sgpr_private_segment_wavefront_offset 0
		.amdhsa_system_sgpr_workgroup_id_x 1
		.amdhsa_system_sgpr_workgroup_id_y 1
		.amdhsa_system_sgpr_workgroup_id_z 1
		.amdhsa_system_sgpr_workgroup_info 0
		.amdhsa_system_vgpr_workitem_id 0
		.amdhsa_next_free_vgpr 25
		.amdhsa_next_free_sgpr 24
		.amdhsa_reserve_vcc 1
		.amdhsa_reserve_flat_scratch 0
		.amdhsa_float_round_mode_32 0
		.amdhsa_float_round_mode_16_64 0
		.amdhsa_float_denorm_mode_32 3
		.amdhsa_float_denorm_mode_16_64 3
		.amdhsa_dx10_clamp 1
		.amdhsa_ieee_mode 1
		.amdhsa_fp16_overflow 0
		.amdhsa_exception_fp_ieee_invalid_op 0
		.amdhsa_exception_fp_denorm_src 0
		.amdhsa_exception_fp_ieee_div_zero 0
		.amdhsa_exception_fp_ieee_overflow 0
		.amdhsa_exception_fp_ieee_underflow 0
		.amdhsa_exception_fp_ieee_inexact 0
		.amdhsa_exception_int_div_zero 0
	.end_amdhsa_kernel
	.section	.text._ZL23ssm_conv_long_token_f32ILb0ELm128ELm15ELl32EEvPKfS1_S1_iiiiPfiiil,"axG",@progbits,_ZL23ssm_conv_long_token_f32ILb0ELm128ELm15ELl32EEvPKfS1_S1_iiiiPfiiil,comdat
.Lfunc_end19:
	.size	_ZL23ssm_conv_long_token_f32ILb0ELm128ELm15ELl32EEvPKfS1_S1_iiiiPfiiil, .Lfunc_end19-_ZL23ssm_conv_long_token_f32ILb0ELm128ELm15ELl32EEvPKfS1_S1_iiiiPfiiil
                                        ; -- End function
	.set _ZL23ssm_conv_long_token_f32ILb0ELm128ELm15ELl32EEvPKfS1_S1_iiiiPfiiil.num_vgpr, 25
	.set _ZL23ssm_conv_long_token_f32ILb0ELm128ELm15ELl32EEvPKfS1_S1_iiiiPfiiil.num_agpr, 0
	.set _ZL23ssm_conv_long_token_f32ILb0ELm128ELm15ELl32EEvPKfS1_S1_iiiiPfiiil.numbered_sgpr, 24
	.set _ZL23ssm_conv_long_token_f32ILb0ELm128ELm15ELl32EEvPKfS1_S1_iiiiPfiiil.num_named_barrier, 0
	.set _ZL23ssm_conv_long_token_f32ILb0ELm128ELm15ELl32EEvPKfS1_S1_iiiiPfiiil.private_seg_size, 0
	.set _ZL23ssm_conv_long_token_f32ILb0ELm128ELm15ELl32EEvPKfS1_S1_iiiiPfiiil.uses_vcc, 1
	.set _ZL23ssm_conv_long_token_f32ILb0ELm128ELm15ELl32EEvPKfS1_S1_iiiiPfiiil.uses_flat_scratch, 0
	.set _ZL23ssm_conv_long_token_f32ILb0ELm128ELm15ELl32EEvPKfS1_S1_iiiiPfiiil.has_dyn_sized_stack, 0
	.set _ZL23ssm_conv_long_token_f32ILb0ELm128ELm15ELl32EEvPKfS1_S1_iiiiPfiiil.has_recursion, 0
	.set _ZL23ssm_conv_long_token_f32ILb0ELm128ELm15ELl32EEvPKfS1_S1_iiiiPfiiil.has_indirect_call, 0
	.section	.AMDGPU.csdata,"",@progbits
; Kernel info:
; codeLenInByte = 6816
; TotalNumSgprs: 28
; NumVgprs: 25
; ScratchSize: 0
; MemoryBound: 0
; FloatMode: 240
; IeeeMode: 1
; LDSByteSize: 0 bytes/workgroup (compile time only)
; SGPRBlocks: 3
; VGPRBlocks: 6
; NumSGPRsForWavesPerEU: 28
; NumVGPRsForWavesPerEU: 25
; Occupancy: 9
; WaveLimiterHint : 0
; COMPUTE_PGM_RSRC2:SCRATCH_EN: 0
; COMPUTE_PGM_RSRC2:USER_SGPR: 6
; COMPUTE_PGM_RSRC2:TRAP_HANDLER: 0
; COMPUTE_PGM_RSRC2:TGID_X_EN: 1
; COMPUTE_PGM_RSRC2:TGID_Y_EN: 1
; COMPUTE_PGM_RSRC2:TGID_Z_EN: 1
; COMPUTE_PGM_RSRC2:TIDIG_COMP_CNT: 0
	.section	.AMDGPU.gpr_maximums,"",@progbits
	.set amdgpu.max_num_vgpr, 0
	.set amdgpu.max_num_agpr, 0
	.set amdgpu.max_num_sgpr, 0
	.section	.AMDGPU.csdata,"",@progbits
	.type	__hip_cuid_ca153f2a8476e250,@object ; @__hip_cuid_ca153f2a8476e250
	.section	.bss,"aw",@nobits
	.globl	__hip_cuid_ca153f2a8476e250
__hip_cuid_ca153f2a8476e250:
	.byte	0                               ; 0x0
	.size	__hip_cuid_ca153f2a8476e250, 1

	.ident	"AMD clang version 22.0.0git (https://github.com/RadeonOpenCompute/llvm-project roc-7.2.4 26084 f58b06dce1f9c15707c5f808fd002e18c2accf7e)"
	.section	".note.GNU-stack","",@progbits
	.addrsig
	.addrsig_sym __hip_cuid_ca153f2a8476e250
	.amdgpu_metadata
---
amdhsa.kernels:
  - .args:
      - .address_space:  global
        .offset:         0
        .size:           8
        .value_kind:     global_buffer
      - .address_space:  global
        .offset:         8
        .size:           8
        .value_kind:     global_buffer
      - .address_space:  global
        .offset:         16
        .size:           8
        .value_kind:     global_buffer
      - .offset:         24
        .size:           4
        .value_kind:     by_value
      - .offset:         28
        .size:           4
        .value_kind:     by_value
      - .offset:         32
        .size:           4
        .value_kind:     by_value
      - .offset:         36
        .size:           4
        .value_kind:     by_value
      - .address_space:  global
        .offset:         40
        .size:           8
        .value_kind:     global_buffer
      - .offset:         48
        .size:           4
        .value_kind:     by_value
      - .offset:         52
        .size:           4
        .value_kind:     by_value
      - .offset:         56
        .size:           4
        .value_kind:     by_value
      - .offset:         64
        .size:           8
        .value_kind:     by_value
    .group_segment_fixed_size: 0
    .kernarg_segment_align: 8
    .kernarg_segment_size: 72
    .language:       OpenCL C
    .language_version:
      - 2
      - 0
    .max_flat_workgroup_size: 1024
    .name:           _ZL12ssm_conv_f32ILb1ELm128ELm3EEvPKfS1_S1_iiiiPfiiil
    .private_segment_fixed_size: 0
    .sgpr_count:     48
    .sgpr_spill_count: 0
    .symbol:         _ZL12ssm_conv_f32ILb1ELm128ELm3EEvPKfS1_S1_iiiiPfiiil.kd
    .uniform_work_group_size: 1
    .uses_dynamic_stack: false
    .vgpr_count:     19
    .vgpr_spill_count: 0
    .wavefront_size: 64
  - .args:
      - .actual_access:  read_only
        .address_space:  global
        .offset:         0
        .size:           8
        .value_kind:     global_buffer
      - .actual_access:  read_only
        .address_space:  global
        .offset:         8
        .size:           8
        .value_kind:     global_buffer
      - .actual_access:  read_only
        .address_space:  global
        .offset:         16
        .size:           8
        .value_kind:     global_buffer
      - .offset:         24
        .size:           4
        .value_kind:     by_value
      - .offset:         28
        .size:           4
        .value_kind:     by_value
      - .offset:         32
        .size:           4
        .value_kind:     by_value
      - .offset:         36
        .size:           4
        .value_kind:     by_value
      - .actual_access:  write_only
        .address_space:  global
        .offset:         40
        .size:           8
        .value_kind:     global_buffer
      - .offset:         48
        .size:           4
        .value_kind:     by_value
      - .offset:         52
        .size:           4
        .value_kind:     by_value
      - .offset:         56
        .size:           4
        .value_kind:     by_value
      - .offset:         64
        .size:           8
        .value_kind:     by_value
    .group_segment_fixed_size: 0
    .kernarg_segment_align: 8
    .kernarg_segment_size: 72
    .language:       OpenCL C
    .language_version:
      - 2
      - 0
    .max_flat_workgroup_size: 1024
    .name:           _ZL23ssm_conv_long_token_f32ILb1ELm128ELm3ELl32EEvPKfS1_S1_iiiiPfiiil
    .private_segment_fixed_size: 0
    .sgpr_count:     28
    .sgpr_spill_count: 0
    .symbol:         _ZL23ssm_conv_long_token_f32ILb1ELm128ELm3ELl32EEvPKfS1_S1_iiiiPfiiil.kd
    .uniform_work_group_size: 1
    .uses_dynamic_stack: false
    .vgpr_count:     17
    .vgpr_spill_count: 0
    .wavefront_size: 64
  - .args:
      - .address_space:  global
        .offset:         0
        .size:           8
        .value_kind:     global_buffer
      - .address_space:  global
        .offset:         8
        .size:           8
        .value_kind:     global_buffer
      - .address_space:  global
        .offset:         16
        .size:           8
        .value_kind:     global_buffer
      - .offset:         24
        .size:           4
        .value_kind:     by_value
      - .offset:         28
        .size:           4
        .value_kind:     by_value
      - .offset:         32
        .size:           4
        .value_kind:     by_value
      - .offset:         36
        .size:           4
        .value_kind:     by_value
      - .address_space:  global
        .offset:         40
        .size:           8
        .value_kind:     global_buffer
      - .offset:         48
        .size:           4
        .value_kind:     by_value
      - .offset:         52
        .size:           4
        .value_kind:     by_value
      - .offset:         56
        .size:           4
        .value_kind:     by_value
      - .offset:         64
        .size:           8
        .value_kind:     by_value
    .group_segment_fixed_size: 0
    .kernarg_segment_align: 8
    .kernarg_segment_size: 72
    .language:       OpenCL C
    .language_version:
      - 2
      - 0
    .max_flat_workgroup_size: 1024
    .name:           _ZL12ssm_conv_f32ILb1ELm128ELm4EEvPKfS1_S1_iiiiPfiiil
    .private_segment_fixed_size: 0
    .sgpr_count:     28
    .sgpr_spill_count: 0
    .symbol:         _ZL12ssm_conv_f32ILb1ELm128ELm4EEvPKfS1_S1_iiiiPfiiil.kd
    .uniform_work_group_size: 1
    .uses_dynamic_stack: false
    .vgpr_count:     21
    .vgpr_spill_count: 0
    .wavefront_size: 64
  - .args:
      - .actual_access:  read_only
        .address_space:  global
        .offset:         0
        .size:           8
        .value_kind:     global_buffer
      - .actual_access:  read_only
        .address_space:  global
        .offset:         8
        .size:           8
        .value_kind:     global_buffer
      - .actual_access:  read_only
        .address_space:  global
        .offset:         16
        .size:           8
        .value_kind:     global_buffer
      - .offset:         24
        .size:           4
        .value_kind:     by_value
      - .offset:         28
        .size:           4
        .value_kind:     by_value
      - .offset:         32
        .size:           4
        .value_kind:     by_value
      - .offset:         36
        .size:           4
        .value_kind:     by_value
      - .actual_access:  write_only
        .address_space:  global
        .offset:         40
        .size:           8
        .value_kind:     global_buffer
      - .offset:         48
        .size:           4
        .value_kind:     by_value
      - .offset:         52
        .size:           4
        .value_kind:     by_value
      - .offset:         56
        .size:           4
        .value_kind:     by_value
      - .offset:         64
        .size:           8
        .value_kind:     by_value
    .group_segment_fixed_size: 0
    .kernarg_segment_align: 8
    .kernarg_segment_size: 72
    .language:       OpenCL C
    .language_version:
      - 2
      - 0
    .max_flat_workgroup_size: 1024
    .name:           _ZL23ssm_conv_long_token_f32ILb1ELm128ELm4ELl32EEvPKfS1_S1_iiiiPfiiil
    .private_segment_fixed_size: 0
    .sgpr_count:     28
    .sgpr_spill_count: 0
    .symbol:         _ZL23ssm_conv_long_token_f32ILb1ELm128ELm4ELl32EEvPKfS1_S1_iiiiPfiiil.kd
    .uniform_work_group_size: 1
    .uses_dynamic_stack: false
    .vgpr_count:     18
    .vgpr_spill_count: 0
    .wavefront_size: 64
  - .args:
      - .address_space:  global
        .offset:         0
        .size:           8
        .value_kind:     global_buffer
      - .address_space:  global
        .offset:         8
        .size:           8
        .value_kind:     global_buffer
      - .address_space:  global
        .offset:         16
        .size:           8
        .value_kind:     global_buffer
      - .offset:         24
        .size:           4
        .value_kind:     by_value
      - .offset:         28
        .size:           4
        .value_kind:     by_value
      - .offset:         32
        .size:           4
        .value_kind:     by_value
      - .offset:         36
        .size:           4
        .value_kind:     by_value
      - .address_space:  global
        .offset:         40
        .size:           8
        .value_kind:     global_buffer
      - .offset:         48
        .size:           4
        .value_kind:     by_value
      - .offset:         52
        .size:           4
        .value_kind:     by_value
      - .offset:         56
        .size:           4
        .value_kind:     by_value
      - .offset:         64
        .size:           8
        .value_kind:     by_value
    .group_segment_fixed_size: 0
    .kernarg_segment_align: 8
    .kernarg_segment_size: 72
    .language:       OpenCL C
    .language_version:
      - 2
      - 0
    .max_flat_workgroup_size: 1024
    .name:           _ZL12ssm_conv_f32ILb1ELm128ELm5EEvPKfS1_S1_iiiiPfiiil
    .private_segment_fixed_size: 0
    .sgpr_count:     66
    .sgpr_spill_count: 0
    .symbol:         _ZL12ssm_conv_f32ILb1ELm128ELm5EEvPKfS1_S1_iiiiPfiiil.kd
    .uniform_work_group_size: 1
    .uses_dynamic_stack: false
    .vgpr_count:     23
    .vgpr_spill_count: 0
    .wavefront_size: 64
  - .args:
      - .actual_access:  read_only
        .address_space:  global
        .offset:         0
        .size:           8
        .value_kind:     global_buffer
      - .actual_access:  read_only
        .address_space:  global
        .offset:         8
        .size:           8
        .value_kind:     global_buffer
      - .actual_access:  read_only
        .address_space:  global
        .offset:         16
        .size:           8
        .value_kind:     global_buffer
      - .offset:         24
        .size:           4
        .value_kind:     by_value
      - .offset:         28
        .size:           4
        .value_kind:     by_value
      - .offset:         32
        .size:           4
        .value_kind:     by_value
      - .offset:         36
        .size:           4
        .value_kind:     by_value
      - .actual_access:  write_only
        .address_space:  global
        .offset:         40
        .size:           8
        .value_kind:     global_buffer
      - .offset:         48
        .size:           4
        .value_kind:     by_value
      - .offset:         52
        .size:           4
        .value_kind:     by_value
      - .offset:         56
        .size:           4
        .value_kind:     by_value
      - .offset:         64
        .size:           8
        .value_kind:     by_value
    .group_segment_fixed_size: 0
    .kernarg_segment_align: 8
    .kernarg_segment_size: 72
    .language:       OpenCL C
    .language_version:
      - 2
      - 0
    .max_flat_workgroup_size: 1024
    .name:           _ZL23ssm_conv_long_token_f32ILb1ELm128ELm5ELl32EEvPKfS1_S1_iiiiPfiiil
    .private_segment_fixed_size: 0
    .sgpr_count:     28
    .sgpr_spill_count: 0
    .symbol:         _ZL23ssm_conv_long_token_f32ILb1ELm128ELm5ELl32EEvPKfS1_S1_iiiiPfiiil.kd
    .uniform_work_group_size: 1
    .uses_dynamic_stack: false
    .vgpr_count:     19
    .vgpr_spill_count: 0
    .wavefront_size: 64
  - .args:
      - .address_space:  global
        .offset:         0
        .size:           8
        .value_kind:     global_buffer
      - .address_space:  global
        .offset:         8
        .size:           8
        .value_kind:     global_buffer
      - .address_space:  global
        .offset:         16
        .size:           8
        .value_kind:     global_buffer
      - .offset:         24
        .size:           4
        .value_kind:     by_value
      - .offset:         28
        .size:           4
        .value_kind:     by_value
      - .offset:         32
        .size:           4
        .value_kind:     by_value
      - .offset:         36
        .size:           4
        .value_kind:     by_value
      - .address_space:  global
        .offset:         40
        .size:           8
        .value_kind:     global_buffer
      - .offset:         48
        .size:           4
        .value_kind:     by_value
      - .offset:         52
        .size:           4
        .value_kind:     by_value
      - .offset:         56
        .size:           4
        .value_kind:     by_value
      - .offset:         64
        .size:           8
        .value_kind:     by_value
    .group_segment_fixed_size: 0
    .kernarg_segment_align: 8
    .kernarg_segment_size: 72
    .language:       OpenCL C
    .language_version:
      - 2
      - 0
    .max_flat_workgroup_size: 1024
    .name:           _ZL12ssm_conv_f32ILb1ELm128ELm9EEvPKfS1_S1_iiiiPfiiil
    .private_segment_fixed_size: 0
    .sgpr_count:     84
    .sgpr_spill_count: 0
    .symbol:         _ZL12ssm_conv_f32ILb1ELm128ELm9EEvPKfS1_S1_iiiiPfiiil.kd
    .uniform_work_group_size: 1
    .uses_dynamic_stack: false
    .vgpr_count:     31
    .vgpr_spill_count: 0
    .wavefront_size: 64
  - .args:
      - .actual_access:  read_only
        .address_space:  global
        .offset:         0
        .size:           8
        .value_kind:     global_buffer
      - .actual_access:  read_only
        .address_space:  global
        .offset:         8
        .size:           8
        .value_kind:     global_buffer
      - .actual_access:  read_only
        .address_space:  global
        .offset:         16
        .size:           8
        .value_kind:     global_buffer
      - .offset:         24
        .size:           4
        .value_kind:     by_value
      - .offset:         28
        .size:           4
        .value_kind:     by_value
      - .offset:         32
        .size:           4
        .value_kind:     by_value
      - .offset:         36
        .size:           4
        .value_kind:     by_value
      - .actual_access:  write_only
        .address_space:  global
        .offset:         40
        .size:           8
        .value_kind:     global_buffer
      - .offset:         48
        .size:           4
        .value_kind:     by_value
      - .offset:         52
        .size:           4
        .value_kind:     by_value
      - .offset:         56
        .size:           4
        .value_kind:     by_value
      - .offset:         64
        .size:           8
        .value_kind:     by_value
    .group_segment_fixed_size: 0
    .kernarg_segment_align: 8
    .kernarg_segment_size: 72
    .language:       OpenCL C
    .language_version:
      - 2
      - 0
    .max_flat_workgroup_size: 1024
    .name:           _ZL23ssm_conv_long_token_f32ILb1ELm128ELm9ELl32EEvPKfS1_S1_iiiiPfiiil
    .private_segment_fixed_size: 0
    .sgpr_count:     28
    .sgpr_spill_count: 0
    .symbol:         _ZL23ssm_conv_long_token_f32ILb1ELm128ELm9ELl32EEvPKfS1_S1_iiiiPfiiil.kd
    .uniform_work_group_size: 1
    .uses_dynamic_stack: false
    .vgpr_count:     24
    .vgpr_spill_count: 0
    .wavefront_size: 64
  - .args:
      - .address_space:  global
        .offset:         0
        .size:           8
        .value_kind:     global_buffer
      - .address_space:  global
        .offset:         8
        .size:           8
        .value_kind:     global_buffer
      - .address_space:  global
        .offset:         16
        .size:           8
        .value_kind:     global_buffer
      - .offset:         24
        .size:           4
        .value_kind:     by_value
      - .offset:         28
        .size:           4
        .value_kind:     by_value
      - .offset:         32
        .size:           4
        .value_kind:     by_value
      - .offset:         36
        .size:           4
        .value_kind:     by_value
      - .address_space:  global
        .offset:         40
        .size:           8
        .value_kind:     global_buffer
      - .offset:         48
        .size:           4
        .value_kind:     by_value
      - .offset:         52
        .size:           4
        .value_kind:     by_value
      - .offset:         56
        .size:           4
        .value_kind:     by_value
      - .offset:         64
        .size:           8
        .value_kind:     by_value
    .group_segment_fixed_size: 0
    .kernarg_segment_align: 8
    .kernarg_segment_size: 72
    .language:       OpenCL C
    .language_version:
      - 2
      - 0
    .max_flat_workgroup_size: 1024
    .name:           _ZL12ssm_conv_f32ILb1ELm128ELm15EEvPKfS1_S1_iiiiPfiiil
    .private_segment_fixed_size: 0
    .sgpr_count:     100
    .sgpr_spill_count: 0
    .symbol:         _ZL12ssm_conv_f32ILb1ELm128ELm15EEvPKfS1_S1_iiiiPfiiil.kd
    .uniform_work_group_size: 1
    .uses_dynamic_stack: false
    .vgpr_count:     43
    .vgpr_spill_count: 0
    .wavefront_size: 64
  - .args:
      - .actual_access:  read_only
        .address_space:  global
        .offset:         0
        .size:           8
        .value_kind:     global_buffer
      - .actual_access:  read_only
        .address_space:  global
        .offset:         8
        .size:           8
        .value_kind:     global_buffer
      - .actual_access:  read_only
        .address_space:  global
        .offset:         16
        .size:           8
        .value_kind:     global_buffer
      - .offset:         24
        .size:           4
        .value_kind:     by_value
      - .offset:         28
        .size:           4
        .value_kind:     by_value
      - .offset:         32
        .size:           4
        .value_kind:     by_value
      - .offset:         36
        .size:           4
        .value_kind:     by_value
      - .actual_access:  write_only
        .address_space:  global
        .offset:         40
        .size:           8
        .value_kind:     global_buffer
      - .offset:         48
        .size:           4
        .value_kind:     by_value
      - .offset:         52
        .size:           4
        .value_kind:     by_value
      - .offset:         56
        .size:           4
        .value_kind:     by_value
      - .offset:         64
        .size:           8
        .value_kind:     by_value
    .group_segment_fixed_size: 0
    .kernarg_segment_align: 8
    .kernarg_segment_size: 72
    .language:       OpenCL C
    .language_version:
      - 2
      - 0
    .max_flat_workgroup_size: 1024
    .name:           _ZL23ssm_conv_long_token_f32ILb1ELm128ELm15ELl32EEvPKfS1_S1_iiiiPfiiil
    .private_segment_fixed_size: 0
    .sgpr_count:     28
    .sgpr_spill_count: 0
    .symbol:         _ZL23ssm_conv_long_token_f32ILb1ELm128ELm15ELl32EEvPKfS1_S1_iiiiPfiiil.kd
    .uniform_work_group_size: 1
    .uses_dynamic_stack: false
    .vgpr_count:     30
    .vgpr_spill_count: 0
    .wavefront_size: 64
  - .args:
      - .address_space:  global
        .offset:         0
        .size:           8
        .value_kind:     global_buffer
      - .address_space:  global
        .offset:         8
        .size:           8
        .value_kind:     global_buffer
      - .address_space:  global
        .offset:         16
        .size:           8
        .value_kind:     global_buffer
      - .offset:         24
        .size:           4
        .value_kind:     by_value
      - .offset:         28
        .size:           4
        .value_kind:     by_value
      - .offset:         32
        .size:           4
        .value_kind:     by_value
      - .offset:         36
        .size:           4
        .value_kind:     by_value
      - .address_space:  global
        .offset:         40
        .size:           8
        .value_kind:     global_buffer
      - .offset:         48
        .size:           4
        .value_kind:     by_value
      - .offset:         52
        .size:           4
        .value_kind:     by_value
      - .offset:         56
        .size:           4
        .value_kind:     by_value
      - .offset:         64
        .size:           8
        .value_kind:     by_value
    .group_segment_fixed_size: 0
    .kernarg_segment_align: 8
    .kernarg_segment_size: 72
    .language:       OpenCL C
    .language_version:
      - 2
      - 0
    .max_flat_workgroup_size: 1024
    .name:           _ZL12ssm_conv_f32ILb0ELm128ELm3EEvPKfS1_S1_iiiiPfiiil
    .private_segment_fixed_size: 0
    .sgpr_count:     44
    .sgpr_spill_count: 0
    .symbol:         _ZL12ssm_conv_f32ILb0ELm128ELm3EEvPKfS1_S1_iiiiPfiiil.kd
    .uniform_work_group_size: 1
    .uses_dynamic_stack: false
    .vgpr_count:     14
    .vgpr_spill_count: 0
    .wavefront_size: 64
  - .args:
      - .actual_access:  read_only
        .address_space:  global
        .offset:         0
        .size:           8
        .value_kind:     global_buffer
      - .actual_access:  read_only
        .address_space:  global
        .offset:         8
        .size:           8
        .value_kind:     global_buffer
      - .actual_access:  read_only
        .address_space:  global
        .offset:         16
        .size:           8
        .value_kind:     global_buffer
      - .offset:         24
        .size:           4
        .value_kind:     by_value
      - .offset:         28
        .size:           4
        .value_kind:     by_value
      - .offset:         32
        .size:           4
        .value_kind:     by_value
      - .offset:         36
        .size:           4
        .value_kind:     by_value
      - .actual_access:  write_only
        .address_space:  global
        .offset:         40
        .size:           8
        .value_kind:     global_buffer
      - .offset:         48
        .size:           4
        .value_kind:     by_value
      - .offset:         52
        .size:           4
        .value_kind:     by_value
      - .offset:         56
        .size:           4
        .value_kind:     by_value
      - .offset:         64
        .size:           8
        .value_kind:     by_value
    .group_segment_fixed_size: 0
    .kernarg_segment_align: 8
    .kernarg_segment_size: 72
    .language:       OpenCL C
    .language_version:
      - 2
      - 0
    .max_flat_workgroup_size: 1024
    .name:           _ZL23ssm_conv_long_token_f32ILb0ELm128ELm3ELl32EEvPKfS1_S1_iiiiPfiiil
    .private_segment_fixed_size: 0
    .sgpr_count:     28
    .sgpr_spill_count: 0
    .symbol:         _ZL23ssm_conv_long_token_f32ILb0ELm128ELm3ELl32EEvPKfS1_S1_iiiiPfiiil.kd
    .uniform_work_group_size: 1
    .uses_dynamic_stack: false
    .vgpr_count:     12
    .vgpr_spill_count: 0
    .wavefront_size: 64
  - .args:
      - .address_space:  global
        .offset:         0
        .size:           8
        .value_kind:     global_buffer
      - .address_space:  global
        .offset:         8
        .size:           8
        .value_kind:     global_buffer
      - .address_space:  global
        .offset:         16
        .size:           8
        .value_kind:     global_buffer
      - .offset:         24
        .size:           4
        .value_kind:     by_value
      - .offset:         28
        .size:           4
        .value_kind:     by_value
      - .offset:         32
        .size:           4
        .value_kind:     by_value
      - .offset:         36
        .size:           4
        .value_kind:     by_value
      - .address_space:  global
        .offset:         40
        .size:           8
        .value_kind:     global_buffer
      - .offset:         48
        .size:           4
        .value_kind:     by_value
      - .offset:         52
        .size:           4
        .value_kind:     by_value
      - .offset:         56
        .size:           4
        .value_kind:     by_value
      - .offset:         64
        .size:           8
        .value_kind:     by_value
    .group_segment_fixed_size: 0
    .kernarg_segment_align: 8
    .kernarg_segment_size: 72
    .language:       OpenCL C
    .language_version:
      - 2
      - 0
    .max_flat_workgroup_size: 1024
    .name:           _ZL12ssm_conv_f32ILb0ELm128ELm4EEvPKfS1_S1_iiiiPfiiil
    .private_segment_fixed_size: 0
    .sgpr_count:     26
    .sgpr_spill_count: 0
    .symbol:         _ZL12ssm_conv_f32ILb0ELm128ELm4EEvPKfS1_S1_iiiiPfiiil.kd
    .uniform_work_group_size: 1
    .uses_dynamic_stack: false
    .vgpr_count:     17
    .vgpr_spill_count: 0
    .wavefront_size: 64
  - .args:
      - .actual_access:  read_only
        .address_space:  global
        .offset:         0
        .size:           8
        .value_kind:     global_buffer
      - .actual_access:  read_only
        .address_space:  global
        .offset:         8
        .size:           8
        .value_kind:     global_buffer
      - .actual_access:  read_only
        .address_space:  global
        .offset:         16
        .size:           8
        .value_kind:     global_buffer
      - .offset:         24
        .size:           4
        .value_kind:     by_value
      - .offset:         28
        .size:           4
        .value_kind:     by_value
      - .offset:         32
        .size:           4
        .value_kind:     by_value
      - .offset:         36
        .size:           4
        .value_kind:     by_value
      - .actual_access:  write_only
        .address_space:  global
        .offset:         40
        .size:           8
        .value_kind:     global_buffer
      - .offset:         48
        .size:           4
        .value_kind:     by_value
      - .offset:         52
        .size:           4
        .value_kind:     by_value
      - .offset:         56
        .size:           4
        .value_kind:     by_value
      - .offset:         64
        .size:           8
        .value_kind:     by_value
    .group_segment_fixed_size: 0
    .kernarg_segment_align: 8
    .kernarg_segment_size: 72
    .language:       OpenCL C
    .language_version:
      - 2
      - 0
    .max_flat_workgroup_size: 1024
    .name:           _ZL23ssm_conv_long_token_f32ILb0ELm128ELm4ELl32EEvPKfS1_S1_iiiiPfiiil
    .private_segment_fixed_size: 0
    .sgpr_count:     28
    .sgpr_spill_count: 0
    .symbol:         _ZL23ssm_conv_long_token_f32ILb0ELm128ELm4ELl32EEvPKfS1_S1_iiiiPfiiil.kd
    .uniform_work_group_size: 1
    .uses_dynamic_stack: false
    .vgpr_count:     14
    .vgpr_spill_count: 0
    .wavefront_size: 64
  - .args:
      - .address_space:  global
        .offset:         0
        .size:           8
        .value_kind:     global_buffer
      - .address_space:  global
        .offset:         8
        .size:           8
        .value_kind:     global_buffer
      - .address_space:  global
        .offset:         16
        .size:           8
        .value_kind:     global_buffer
      - .offset:         24
        .size:           4
        .value_kind:     by_value
      - .offset:         28
        .size:           4
        .value_kind:     by_value
      - .offset:         32
        .size:           4
        .value_kind:     by_value
      - .offset:         36
        .size:           4
        .value_kind:     by_value
      - .address_space:  global
        .offset:         40
        .size:           8
        .value_kind:     global_buffer
      - .offset:         48
        .size:           4
        .value_kind:     by_value
      - .offset:         52
        .size:           4
        .value_kind:     by_value
      - .offset:         56
        .size:           4
        .value_kind:     by_value
      - .offset:         64
        .size:           8
        .value_kind:     by_value
    .group_segment_fixed_size: 0
    .kernarg_segment_align: 8
    .kernarg_segment_size: 72
    .language:       OpenCL C
    .language_version:
      - 2
      - 0
    .max_flat_workgroup_size: 1024
    .name:           _ZL12ssm_conv_f32ILb0ELm128ELm5EEvPKfS1_S1_iiiiPfiiil
    .private_segment_fixed_size: 0
    .sgpr_count:     64
    .sgpr_spill_count: 0
    .symbol:         _ZL12ssm_conv_f32ILb0ELm128ELm5EEvPKfS1_S1_iiiiPfiiil.kd
    .uniform_work_group_size: 1
    .uses_dynamic_stack: false
    .vgpr_count:     19
    .vgpr_spill_count: 0
    .wavefront_size: 64
  - .args:
      - .actual_access:  read_only
        .address_space:  global
        .offset:         0
        .size:           8
        .value_kind:     global_buffer
      - .actual_access:  read_only
        .address_space:  global
        .offset:         8
        .size:           8
        .value_kind:     global_buffer
      - .actual_access:  read_only
        .address_space:  global
        .offset:         16
        .size:           8
        .value_kind:     global_buffer
      - .offset:         24
        .size:           4
        .value_kind:     by_value
      - .offset:         28
        .size:           4
        .value_kind:     by_value
      - .offset:         32
        .size:           4
        .value_kind:     by_value
      - .offset:         36
        .size:           4
        .value_kind:     by_value
      - .actual_access:  write_only
        .address_space:  global
        .offset:         40
        .size:           8
        .value_kind:     global_buffer
      - .offset:         48
        .size:           4
        .value_kind:     by_value
      - .offset:         52
        .size:           4
        .value_kind:     by_value
      - .offset:         56
        .size:           4
        .value_kind:     by_value
      - .offset:         64
        .size:           8
        .value_kind:     by_value
    .group_segment_fixed_size: 0
    .kernarg_segment_align: 8
    .kernarg_segment_size: 72
    .language:       OpenCL C
    .language_version:
      - 2
      - 0
    .max_flat_workgroup_size: 1024
    .name:           _ZL23ssm_conv_long_token_f32ILb0ELm128ELm5ELl32EEvPKfS1_S1_iiiiPfiiil
    .private_segment_fixed_size: 0
    .sgpr_count:     28
    .sgpr_spill_count: 0
    .symbol:         _ZL23ssm_conv_long_token_f32ILb0ELm128ELm5ELl32EEvPKfS1_S1_iiiiPfiiil.kd
    .uniform_work_group_size: 1
    .uses_dynamic_stack: false
    .vgpr_count:     16
    .vgpr_spill_count: 0
    .wavefront_size: 64
  - .args:
      - .address_space:  global
        .offset:         0
        .size:           8
        .value_kind:     global_buffer
      - .address_space:  global
        .offset:         8
        .size:           8
        .value_kind:     global_buffer
      - .address_space:  global
        .offset:         16
        .size:           8
        .value_kind:     global_buffer
      - .offset:         24
        .size:           4
        .value_kind:     by_value
      - .offset:         28
        .size:           4
        .value_kind:     by_value
      - .offset:         32
        .size:           4
        .value_kind:     by_value
      - .offset:         36
        .size:           4
        .value_kind:     by_value
      - .address_space:  global
        .offset:         40
        .size:           8
        .value_kind:     global_buffer
      - .offset:         48
        .size:           4
        .value_kind:     by_value
      - .offset:         52
        .size:           4
        .value_kind:     by_value
      - .offset:         56
        .size:           4
        .value_kind:     by_value
      - .offset:         64
        .size:           8
        .value_kind:     by_value
    .group_segment_fixed_size: 0
    .kernarg_segment_align: 8
    .kernarg_segment_size: 72
    .language:       OpenCL C
    .language_version:
      - 2
      - 0
    .max_flat_workgroup_size: 1024
    .name:           _ZL12ssm_conv_f32ILb0ELm128ELm9EEvPKfS1_S1_iiiiPfiiil
    .private_segment_fixed_size: 0
    .sgpr_count:     69
    .sgpr_spill_count: 0
    .symbol:         _ZL12ssm_conv_f32ILb0ELm128ELm9EEvPKfS1_S1_iiiiPfiiil.kd
    .uniform_work_group_size: 1
    .uses_dynamic_stack: false
    .vgpr_count:     27
    .vgpr_spill_count: 0
    .wavefront_size: 64
  - .args:
      - .actual_access:  read_only
        .address_space:  global
        .offset:         0
        .size:           8
        .value_kind:     global_buffer
      - .actual_access:  read_only
        .address_space:  global
        .offset:         8
        .size:           8
        .value_kind:     global_buffer
      - .actual_access:  read_only
        .address_space:  global
        .offset:         16
        .size:           8
        .value_kind:     global_buffer
      - .offset:         24
        .size:           4
        .value_kind:     by_value
      - .offset:         28
        .size:           4
        .value_kind:     by_value
      - .offset:         32
        .size:           4
        .value_kind:     by_value
      - .offset:         36
        .size:           4
        .value_kind:     by_value
      - .actual_access:  write_only
        .address_space:  global
        .offset:         40
        .size:           8
        .value_kind:     global_buffer
      - .offset:         48
        .size:           4
        .value_kind:     by_value
      - .offset:         52
        .size:           4
        .value_kind:     by_value
      - .offset:         56
        .size:           4
        .value_kind:     by_value
      - .offset:         64
        .size:           8
        .value_kind:     by_value
    .group_segment_fixed_size: 0
    .kernarg_segment_align: 8
    .kernarg_segment_size: 72
    .language:       OpenCL C
    .language_version:
      - 2
      - 0
    .max_flat_workgroup_size: 1024
    .name:           _ZL23ssm_conv_long_token_f32ILb0ELm128ELm9ELl32EEvPKfS1_S1_iiiiPfiiil
    .private_segment_fixed_size: 0
    .sgpr_count:     28
    .sgpr_spill_count: 0
    .symbol:         _ZL23ssm_conv_long_token_f32ILb0ELm128ELm9ELl32EEvPKfS1_S1_iiiiPfiiil.kd
    .uniform_work_group_size: 1
    .uses_dynamic_stack: false
    .vgpr_count:     23
    .vgpr_spill_count: 0
    .wavefront_size: 64
  - .args:
      - .address_space:  global
        .offset:         0
        .size:           8
        .value_kind:     global_buffer
      - .address_space:  global
        .offset:         8
        .size:           8
        .value_kind:     global_buffer
      - .address_space:  global
        .offset:         16
        .size:           8
        .value_kind:     global_buffer
      - .offset:         24
        .size:           4
        .value_kind:     by_value
      - .offset:         28
        .size:           4
        .value_kind:     by_value
      - .offset:         32
        .size:           4
        .value_kind:     by_value
      - .offset:         36
        .size:           4
        .value_kind:     by_value
      - .address_space:  global
        .offset:         40
        .size:           8
        .value_kind:     global_buffer
      - .offset:         48
        .size:           4
        .value_kind:     by_value
      - .offset:         52
        .size:           4
        .value_kind:     by_value
      - .offset:         56
        .size:           4
        .value_kind:     by_value
      - .offset:         64
        .size:           8
        .value_kind:     by_value
    .group_segment_fixed_size: 0
    .kernarg_segment_align: 8
    .kernarg_segment_size: 72
    .language:       OpenCL C
    .language_version:
      - 2
      - 0
    .max_flat_workgroup_size: 1024
    .name:           _ZL12ssm_conv_f32ILb0ELm128ELm15EEvPKfS1_S1_iiiiPfiiil
    .private_segment_fixed_size: 0
    .sgpr_count:     97
    .sgpr_spill_count: 0
    .symbol:         _ZL12ssm_conv_f32ILb0ELm128ELm15EEvPKfS1_S1_iiiiPfiiil.kd
    .uniform_work_group_size: 1
    .uses_dynamic_stack: false
    .vgpr_count:     38
    .vgpr_spill_count: 0
    .wavefront_size: 64
  - .args:
      - .actual_access:  read_only
        .address_space:  global
        .offset:         0
        .size:           8
        .value_kind:     global_buffer
      - .actual_access:  read_only
        .address_space:  global
        .offset:         8
        .size:           8
        .value_kind:     global_buffer
      - .actual_access:  read_only
        .address_space:  global
        .offset:         16
        .size:           8
        .value_kind:     global_buffer
      - .offset:         24
        .size:           4
        .value_kind:     by_value
      - .offset:         28
        .size:           4
        .value_kind:     by_value
      - .offset:         32
        .size:           4
        .value_kind:     by_value
      - .offset:         36
        .size:           4
        .value_kind:     by_value
      - .actual_access:  write_only
        .address_space:  global
        .offset:         40
        .size:           8
        .value_kind:     global_buffer
      - .offset:         48
        .size:           4
        .value_kind:     by_value
      - .offset:         52
        .size:           4
        .value_kind:     by_value
      - .offset:         56
        .size:           4
        .value_kind:     by_value
      - .offset:         64
        .size:           8
        .value_kind:     by_value
    .group_segment_fixed_size: 0
    .kernarg_segment_align: 8
    .kernarg_segment_size: 72
    .language:       OpenCL C
    .language_version:
      - 2
      - 0
    .max_flat_workgroup_size: 1024
    .name:           _ZL23ssm_conv_long_token_f32ILb0ELm128ELm15ELl32EEvPKfS1_S1_iiiiPfiiil
    .private_segment_fixed_size: 0
    .sgpr_count:     28
    .sgpr_spill_count: 0
    .symbol:         _ZL23ssm_conv_long_token_f32ILb0ELm128ELm15ELl32EEvPKfS1_S1_iiiiPfiiil.kd
    .uniform_work_group_size: 1
    .uses_dynamic_stack: false
    .vgpr_count:     25
    .vgpr_spill_count: 0
    .wavefront_size: 64
amdhsa.target:   amdgcn-amd-amdhsa--gfx906
amdhsa.version:
  - 1
  - 2
...

	.end_amdgpu_metadata
